;; amdgpu-corpus repo=ROCm/rocFFT kind=compiled arch=gfx950 opt=O3
	.text
	.amdgcn_target "amdgcn-amd-amdhsa--gfx950"
	.amdhsa_code_object_version 6
	.protected	bluestein_single_back_len1430_dim1_dp_op_CI_CI ; -- Begin function bluestein_single_back_len1430_dim1_dp_op_CI_CI
	.globl	bluestein_single_back_len1430_dim1_dp_op_CI_CI
	.p2align	8
	.type	bluestein_single_back_len1430_dim1_dp_op_CI_CI,@function
bluestein_single_back_len1430_dim1_dp_op_CI_CI: ; @bluestein_single_back_len1430_dim1_dp_op_CI_CI
; %bb.0:
	s_load_dwordx4 s[4:7], s[0:1], 0x28
	v_mul_u32_u24_e32 v1, 0x1cb, v0
	v_add_u32_sdwa v146, s2, v1 dst_sel:DWORD dst_unused:UNUSED_PAD src0_sel:DWORD src1_sel:WORD_1
	v_mov_b32_e32 v147, 0
	s_waitcnt lgkmcnt(0)
	v_cmp_gt_u64_e32 vcc, s[4:5], v[146:147]
	s_and_saveexec_b64 s[2:3], vcc
	s_cbranch_execz .LBB0_23
; %bb.1:
	s_load_dwordx2 s[14:15], s[0:1], 0x0
	s_load_dwordx2 s[12:13], s[0:1], 0x38
	s_movk_i32 s2, 0x8f
	v_mul_lo_u16_sdwa v1, v1, s2 dst_sel:DWORD dst_unused:UNUSED_PAD src0_sel:WORD_1 src1_sel:DWORD
	v_sub_u16_e32 v147, v0, v1
	s_movk_i32 s2, 0x6e
	v_cmp_gt_u16_e64 s[4:5], s2, v147
	v_lshlrev_b32_e32 v144, 4, v147
	s_and_saveexec_b64 s[2:3], s[4:5]
	s_cbranch_execz .LBB0_3
; %bb.2:
	s_load_dwordx2 s[8:9], s[0:1], 0x18
	v_mov_b32_e32 v0, s6
	v_mov_b32_e32 v1, s7
	;; [unrolled: 1-line block ×4, first 2 shown]
	s_waitcnt lgkmcnt(0)
	s_load_dwordx4 s[8:11], s[8:9], 0x0
	v_lshl_add_u64 v[40:41], s[14:15], 0, v[144:145]
	s_waitcnt lgkmcnt(0)
	v_mad_u64_u32 v[2:3], s[6:7], s10, v146, 0
	v_mad_u64_u32 v[4:5], s[6:7], s8, v147, 0
	v_mov_b32_e32 v6, v3
	v_mov_b32_e32 v8, v5
	v_mad_u64_u32 v[6:7], s[6:7], s11, v146, v[6:7]
	v_mov_b32_e32 v3, v6
	v_mad_u64_u32 v[6:7], s[6:7], s9, v147, v[8:9]
	v_mov_b32_e32 v5, v6
	v_lshl_add_u64 v[0:1], v[2:3], 4, v[0:1]
	v_lshl_add_u64 v[4:5], v[4:5], 4, v[0:1]
	v_mad_u64_u32 v[20:21], s[6:7], s8, v102, v[4:5]
	s_mul_i32 s6, s9, 0x6e0
	s_nop 0
	v_add_u32_e32 v21, s6, v21
	global_load_dwordx4 v[0:3], v[4:5], off
	v_mad_u64_u32 v[22:23], s[10:11], s8, v102, v[20:21]
	global_load_dwordx4 v[4:7], v144, s[14:15]
	global_load_dwordx4 v[8:11], v144, s[14:15] offset:1760
	v_add_u32_e32 v23, s6, v23
	global_load_dwordx4 v[12:15], v144, s[14:15] offset:3520
	global_load_dwordx4 v[24:27], v[20:21], off
	global_load_dwordx4 v[16:19], v[22:23], off
	v_mad_u64_u32 v[42:43], s[10:11], s8, v102, v[22:23]
	v_add_u32_e32 v43, s6, v43
	s_movk_i32 s7, 0x1000
	v_mad_u64_u32 v[58:59], s[10:11], s8, v102, v[42:43]
	v_add_co_u32_e32 v32, vcc, s7, v40
	v_add_u32_e32 v59, s6, v59
	s_nop 0
	v_addc_co_u32_e32 v33, vcc, 0, v41, vcc
	s_movk_i32 s7, 0x2000
	v_mad_u64_u32 v[62:63], s[10:11], s8, v102, v[58:59]
	global_load_dwordx4 v[20:23], v[32:33], off offset:1184
	global_load_dwordx4 v[28:31], v[32:33], off offset:2944
	global_load_dwordx4 v[36:39], v[42:43], off
	s_nop 0
	global_load_dwordx4 v[32:35], v[58:59], off
	v_add_co_u32_e32 v60, vcc, s7, v40
	v_add_u32_e32 v63, s6, v63
	s_movk_i32 s9, 0x3000
	v_addc_co_u32_e32 v61, vcc, 0, v41, vcc
	v_mad_u64_u32 v[66:67], s[10:11], s8, v102, v[62:63]
	v_add_co_u32_e32 v90, vcc, s9, v40
	v_add_u32_e32 v67, s6, v67
	s_nop 0
	v_addc_co_u32_e32 v91, vcc, 0, v41, vcc
	global_load_dwordx4 v[42:45], v[60:61], off offset:608
	global_load_dwordx4 v[46:49], v[60:61], off offset:2368
	;; [unrolled: 1-line block ×4, first 2 shown]
	v_mad_u64_u32 v[70:71], s[10:11], s8, v102, v[66:67]
	global_load_dwordx4 v[58:61], v[62:63], off
	v_add_u32_e32 v71, s6, v71
	global_load_dwordx4 v[62:65], v[66:67], off
	v_mad_u64_u32 v[74:75], s[10:11], s8, v102, v[70:71]
	v_add_u32_e32 v75, s6, v75
	global_load_dwordx4 v[66:69], v[70:71], off
	v_mad_u64_u32 v[78:79], s[10:11], s8, v102, v[74:75]
	;; [unrolled: 3-line block ×3, first 2 shown]
	v_add_u32_e32 v93, s6, v93
	s_movk_i32 s7, 0x4000
	global_load_dwordx4 v[74:77], v[78:79], off
	v_add_co_u32_e32 v98, vcc, s7, v40
	v_mad_u64_u32 v[100:101], s[10:11], s8, v102, v[92:93]
	global_load_dwordx4 v[78:81], v[92:93], off
	v_addc_co_u32_e32 v99, vcc, 0, v41, vcc
	global_load_dwordx4 v[82:85], v[90:91], off offset:3552
	global_load_dwordx4 v[86:89], v[98:99], off offset:1216
	v_add_u32_e32 v101, s6, v101
	global_load_dwordx4 v[90:93], v[100:101], off
	global_load_dwordx4 v[94:97], v[98:99], off offset:2976
	v_mad_u64_u32 v[98:99], s[8:9], s8, v102, v[100:101]
	v_add_u32_e32 v99, s6, v99
	s_movk_i32 s6, 0x5000
	v_add_co_u32_e32 v40, vcc, s6, v40
	global_load_dwordx4 v[98:101], v[98:99], off
	s_nop 0
	v_addc_co_u32_e32 v41, vcc, 0, v41, vcc
	global_load_dwordx4 v[102:105], v[40:41], off offset:640
	s_waitcnt vmcnt(24)
	v_mul_f64 v[106:107], v[2:3], v[6:7]
	v_mul_f64 v[40:41], v[0:1], v[6:7]
	v_fmac_f64_e32 v[106:107], v[0:1], v[4:5]
	s_waitcnt vmcnt(21)
	v_mul_f64 v[0:1], v[24:25], v[10:11]
	v_fma_f64 v[108:109], v[2:3], v[4:5], -v[40:41]
	v_fma_f64 v[2:3], v[26:27], v[8:9], -v[0:1]
	v_mul_f64 v[0:1], v[26:27], v[10:11]
	v_fmac_f64_e32 v[0:1], v[24:25], v[8:9]
	ds_write_b128 v144, v[106:109]
	ds_write_b128 v144, v[0:3] offset:1760
	s_waitcnt vmcnt(20)
	v_mul_f64 v[0:1], v[18:19], v[14:15]
	v_mul_f64 v[2:3], v[16:17], v[14:15]
	v_fmac_f64_e32 v[0:1], v[16:17], v[12:13]
	v_fma_f64 v[2:3], v[18:19], v[12:13], -v[2:3]
	ds_write_b128 v144, v[0:3] offset:3520
	s_waitcnt vmcnt(17)
	v_mul_f64 v[0:1], v[38:39], v[22:23]
	v_mul_f64 v[2:3], v[36:37], v[22:23]
	v_fmac_f64_e32 v[0:1], v[36:37], v[20:21]
	v_fma_f64 v[2:3], v[38:39], v[20:21], -v[2:3]
	;; [unrolled: 6-line block ×11, first 2 shown]
	ds_write_b128 v144, v[0:3] offset:21120
.LBB0_3:
	s_or_b64 exec, exec, s[2:3]
	s_waitcnt lgkmcnt(0)
	s_barrier
	s_waitcnt lgkmcnt(0)
                                        ; implicit-def: $vgpr16_vgpr17
                                        ; implicit-def: $vgpr44_vgpr45
                                        ; implicit-def: $vgpr32_vgpr33
                                        ; implicit-def: $vgpr24_vgpr25
                                        ; implicit-def: $vgpr20_vgpr21
                                        ; implicit-def: $vgpr8_vgpr9
                                        ; implicit-def: $vgpr0_vgpr1
                                        ; implicit-def: $vgpr4_vgpr5
                                        ; implicit-def: $vgpr12_vgpr13
                                        ; implicit-def: $vgpr28_vgpr29
                                        ; implicit-def: $vgpr36_vgpr37
                                        ; implicit-def: $vgpr48_vgpr49
                                        ; implicit-def: $vgpr52_vgpr53
	s_and_saveexec_b64 s[2:3], s[4:5]
	s_cbranch_execz .LBB0_5
; %bb.4:
	ds_read_b128 v[16:19], v144
	ds_read_b128 v[44:47], v144 offset:1760
	ds_read_b128 v[32:35], v144 offset:3520
	;; [unrolled: 1-line block ×12, first 2 shown]
.LBB0_5:
	s_or_b64 exec, exec, s[2:3]
	s_waitcnt lgkmcnt(11)
	v_add_f64 v[42:43], v[18:19], v[46:47]
	v_add_f64 v[40:41], v[16:17], v[44:45]
	s_waitcnt lgkmcnt(10)
	v_add_f64 v[42:43], v[42:43], v[34:35]
	v_add_f64 v[40:41], v[40:41], v[32:33]
	;; [unrolled: 3-line block ×9, first 2 shown]
	s_waitcnt lgkmcnt(2)
	v_add_f64 v[42:43], v[42:43], v[38:39]
	s_mov_b32 s20, 0x42a4c3d2
	s_mov_b32 s6, 0x66966769
	;; [unrolled: 1-line block ×5, first 2 shown]
	v_add_f64 v[40:41], v[40:41], v[36:37]
	s_waitcnt lgkmcnt(1)
	v_add_f64 v[42:43], v[42:43], v[50:51]
	s_waitcnt lgkmcnt(0)
	v_add_f64 v[60:61], v[46:47], -v[54:55]
	s_mov_b32 s17, 0xbfddbe06
	s_mov_b32 s16, 0x4267c47c
	;; [unrolled: 1-line block ×13, first 2 shown]
	v_add_f64 v[40:41], v[40:41], v[48:49]
	v_add_f64 v[42:43], v[42:43], v[54:55]
	;; [unrolled: 1-line block ×4, first 2 shown]
	v_add_f64 v[44:45], v[44:45], -v[52:53]
	v_mul_f64 v[46:47], v[60:61], s[16:17]
	s_mov_b32 s11, 0x3fec55a7
	v_mul_f64 v[54:55], v[60:61], s[20:21]
	s_mov_b32 s9, 0x3fe22d96
	v_mul_f64 v[64:65], v[60:61], s[6:7]
	s_mov_b32 s3, 0x3fbedb7d
	v_add_f64 v[68:69], v[32:33], v[48:49]
	v_add_f64 v[32:33], v[32:33], -v[48:49]
	v_add_f64 v[48:49], v[26:27], v[38:39]
	v_add_f64 v[26:27], v[26:27], -v[38:39]
	;; [unrolled: 2-line block ×3, first 2 shown]
	v_mul_f64 v[28:29], v[60:61], s[18:19]
	s_mov_b32 s23, 0xbfd6b1d8
	v_mul_f64 v[72:73], v[60:61], s[26:27]
	s_mov_b32 s25, 0xbfe7f3cc
	;; [unrolled: 2-line block ×3, first 2 shown]
	v_add_f64 v[40:41], v[40:41], v[52:53]
	v_fma_f64 v[52:53], v[58:59], s[10:11], -v[46:47]
	v_fmac_f64_e32 v[46:47], s[10:11], v[58:59]
	v_fma_f64 v[62:63], v[58:59], s[8:9], -v[54:55]
	v_fmac_f64_e32 v[54:55], s[8:9], v[58:59]
	;; [unrolled: 2-line block ×3, first 2 shown]
	v_add_f64 v[66:67], v[34:35], v[50:51]
	v_add_f64 v[34:35], v[34:35], -v[50:51]
	v_add_f64 v[50:51], v[24:25], v[36:37]
	v_add_f64 v[36:37], v[24:25], -v[36:37]
	;; [unrolled: 2-line block ×3, first 2 shown]
	v_fma_f64 v[30:31], v[58:59], s[22:23], -v[28:29]
	v_fmac_f64_e32 v[28:29], s[22:23], v[58:59]
	v_fma_f64 v[74:75], v[58:59], s[24:25], -v[72:73]
	v_fmac_f64_e32 v[72:73], s[24:25], v[58:59]
	;; [unrolled: 2-line block ×3, first 2 shown]
	v_mul_f64 v[58:59], v[44:45], s[16:17]
	v_mul_f64 v[80:81], v[44:45], s[20:21]
	;; [unrolled: 1-line block ×6, first 2 shown]
	v_fma_f64 v[78:79], s[10:11], v[56:57], v[58:59]
	v_fma_f64 v[58:59], v[56:57], s[10:11], -v[58:59]
	v_fma_f64 v[82:83], s[8:9], v[56:57], v[80:81]
	v_fma_f64 v[80:81], v[56:57], s[8:9], -v[80:81]
	;; [unrolled: 2-line block ×6, first 2 shown]
	v_add_f64 v[56:57], v[18:19], v[78:79]
	v_add_f64 v[58:59], v[18:19], v[58:59]
	;; [unrolled: 1-line block ×12, first 2 shown]
	v_mul_f64 v[44:45], v[34:35], s[20:21]
	v_add_f64 v[52:53], v[16:17], v[52:53]
	v_add_f64 v[46:47], v[16:17], v[46:47]
	;; [unrolled: 1-line block ×12, first 2 shown]
	v_fma_f64 v[60:61], v[68:69], s[8:9], -v[44:45]
	v_add_f64 v[52:53], v[60:61], v[52:53]
	v_mul_f64 v[60:61], v[32:33], s[20:21]
	v_fmac_f64_e32 v[44:45], s[8:9], v[68:69]
	v_add_f64 v[44:45], v[44:45], v[46:47]
	v_fma_f64 v[46:47], v[66:67], s[8:9], -v[60:61]
	v_add_f64 v[46:47], v[46:47], v[58:59]
	v_mul_f64 v[58:59], v[34:35], s[18:19]
	v_fma_f64 v[96:97], s[8:9], v[66:67], v[60:61]
	v_fma_f64 v[60:61], v[68:69], s[22:23], -v[58:59]
	v_add_f64 v[60:61], v[60:61], v[62:63]
	v_mul_f64 v[62:63], v[32:33], s[18:19]
	v_fmac_f64_e32 v[58:59], s[22:23], v[68:69]
	v_add_f64 v[56:57], v[96:97], v[56:57]
	v_fma_f64 v[96:97], s[22:23], v[66:67], v[62:63]
	v_add_f64 v[54:55], v[58:59], v[54:55]
	v_fma_f64 v[58:59], v[66:67], s[22:23], -v[62:63]
	v_mul_f64 v[62:63], v[34:35], s[30:31]
	v_add_f64 v[58:59], v[58:59], v[80:81]
	v_fma_f64 v[80:81], v[68:69], s[28:29], -v[62:63]
	v_add_f64 v[70:71], v[80:81], v[70:71]
	v_mul_f64 v[80:81], v[32:33], s[30:31]
	v_fmac_f64_e32 v[62:63], s[28:29], v[68:69]
	s_mov_b32 s37, 0x3fe5384d
	s_mov_b32 s36, s26
	v_add_f64 v[78:79], v[96:97], v[78:79]
	v_fma_f64 v[96:97], s[28:29], v[66:67], v[80:81]
	v_add_f64 v[62:63], v[62:63], v[64:65]
	v_fma_f64 v[64:65], v[66:67], s[28:29], -v[80:81]
	v_mul_f64 v[80:81], v[34:35], s[36:37]
	v_add_f64 v[64:65], v[64:65], v[84:85]
	v_fma_f64 v[84:85], v[68:69], s[24:25], -v[80:81]
	v_add_f64 v[30:31], v[84:85], v[30:31]
	v_mul_f64 v[84:85], v[32:33], s[36:37]
	v_fmac_f64_e32 v[80:81], s[24:25], v[68:69]
	s_mov_b32 s35, 0x3fefc445
	s_mov_b32 s34, s6
	v_add_f64 v[82:83], v[96:97], v[82:83]
	v_fma_f64 v[96:97], s[24:25], v[66:67], v[84:85]
	v_add_f64 v[28:29], v[80:81], v[28:29]
	v_fma_f64 v[80:81], v[66:67], s[24:25], -v[84:85]
	v_mul_f64 v[84:85], v[34:35], s[34:35]
	v_add_f64 v[80:81], v[80:81], v[88:89]
	v_fma_f64 v[88:89], v[68:69], s[2:3], -v[84:85]
	s_mov_b32 s17, 0x3fddbe06
	v_add_f64 v[74:75], v[88:89], v[74:75]
	v_mul_f64 v[88:89], v[32:33], s[34:35]
	v_fmac_f64_e32 v[84:85], s[2:3], v[68:69]
	v_mul_f64 v[34:35], v[34:35], s[16:17]
	v_add_f64 v[86:87], v[96:97], v[86:87]
	v_fma_f64 v[96:97], s[2:3], v[66:67], v[88:89]
	v_add_f64 v[72:73], v[84:85], v[72:73]
	v_fma_f64 v[84:85], v[66:67], s[2:3], -v[88:89]
	v_fma_f64 v[88:89], v[68:69], s[10:11], -v[34:35]
	v_mul_f64 v[32:33], v[32:33], s[16:17]
	v_add_f64 v[76:77], v[88:89], v[76:77]
	v_fma_f64 v[88:89], s[10:11], v[66:67], v[32:33]
	v_fma_f64 v[32:33], v[66:67], s[10:11], -v[32:33]
	v_fmac_f64_e32 v[34:35], s[10:11], v[68:69]
	v_add_f64 v[18:19], v[32:33], v[18:19]
	v_mul_f64 v[32:33], v[26:27], s[6:7]
	v_add_f64 v[16:17], v[34:35], v[16:17]
	v_fma_f64 v[34:35], v[50:51], s[2:3], -v[32:33]
	v_add_f64 v[34:35], v[34:35], v[52:53]
	v_mul_f64 v[52:53], v[36:37], s[6:7]
	v_fmac_f64_e32 v[32:33], s[2:3], v[50:51]
	v_add_f64 v[32:33], v[32:33], v[44:45]
	v_fma_f64 v[44:45], v[48:49], s[2:3], -v[52:53]
	v_add_f64 v[44:45], v[44:45], v[46:47]
	v_mul_f64 v[46:47], v[26:27], s[30:31]
	v_fma_f64 v[66:67], s[2:3], v[48:49], v[52:53]
	v_fma_f64 v[52:53], v[50:51], s[28:29], -v[46:47]
	v_add_f64 v[52:53], v[52:53], v[60:61]
	v_mul_f64 v[60:61], v[36:37], s[30:31]
	v_fmac_f64_e32 v[46:47], s[28:29], v[50:51]
	v_add_f64 v[46:47], v[46:47], v[54:55]
	v_fma_f64 v[54:55], v[48:49], s[28:29], -v[60:61]
	s_mov_b32 s39, 0x3fedeba7
	s_mov_b32 s38, s18
	v_add_f64 v[54:55], v[54:55], v[58:59]
	v_mul_f64 v[58:59], v[26:27], s[38:39]
	v_add_f64 v[56:57], v[66:67], v[56:57]
	v_fma_f64 v[66:67], s[28:29], v[48:49], v[60:61]
	v_fma_f64 v[60:61], v[50:51], s[22:23], -v[58:59]
	v_mul_f64 v[68:69], v[36:37], s[38:39]
	v_fmac_f64_e32 v[58:59], s[22:23], v[50:51]
	v_add_f64 v[58:59], v[58:59], v[62:63]
	v_fma_f64 v[62:63], v[48:49], s[22:23], -v[68:69]
	v_add_f64 v[62:63], v[62:63], v[64:65]
	v_mul_f64 v[64:65], v[26:27], s[16:17]
	v_add_f64 v[60:61], v[60:61], v[70:71]
	v_fma_f64 v[70:71], s[22:23], v[48:49], v[68:69]
	v_fma_f64 v[68:69], v[50:51], s[10:11], -v[64:65]
	v_add_f64 v[30:31], v[68:69], v[30:31]
	v_mul_f64 v[68:69], v[36:37], s[16:17]
	v_fmac_f64_e32 v[64:65], s[10:11], v[50:51]
	v_add_f64 v[66:67], v[66:67], v[78:79]
	v_fma_f64 v[78:79], s[10:11], v[48:49], v[68:69]
	v_add_f64 v[28:29], v[64:65], v[28:29]
	v_fma_f64 v[64:65], v[48:49], s[10:11], -v[68:69]
	v_mul_f64 v[68:69], v[26:27], s[20:21]
	v_add_f64 v[64:65], v[64:65], v[80:81]
	v_fma_f64 v[80:81], v[50:51], s[8:9], -v[68:69]
	v_add_f64 v[74:75], v[80:81], v[74:75]
	v_mul_f64 v[80:81], v[36:37], s[20:21]
	v_fmac_f64_e32 v[68:69], s[8:9], v[50:51]
	v_mul_f64 v[26:27], v[26:27], s[26:27]
	v_add_f64 v[70:71], v[70:71], v[82:83]
	v_fma_f64 v[82:83], s[8:9], v[48:49], v[80:81]
	v_add_f64 v[68:69], v[68:69], v[72:73]
	v_fma_f64 v[72:73], v[48:49], s[8:9], -v[80:81]
	v_fma_f64 v[80:81], v[50:51], s[24:25], -v[26:27]
	v_mul_f64 v[36:37], v[36:37], s[26:27]
	v_fmac_f64_e32 v[26:27], s[24:25], v[50:51]
	v_add_f64 v[16:17], v[26:27], v[16:17]
	v_fma_f64 v[26:27], v[48:49], s[24:25], -v[36:37]
	v_add_f64 v[18:19], v[26:27], v[18:19]
	v_mul_f64 v[26:27], v[22:23], s[18:19]
	v_add_f64 v[76:77], v[80:81], v[76:77]
	v_fma_f64 v[80:81], s[24:25], v[48:49], v[36:37]
	v_fma_f64 v[36:37], v[38:39], s[22:23], -v[26:27]
	v_add_f64 v[34:35], v[36:37], v[34:35]
	v_mul_f64 v[36:37], v[20:21], s[18:19]
	v_fmac_f64_e32 v[26:27], s[22:23], v[38:39]
	v_fma_f64 v[48:49], s[22:23], v[24:25], v[36:37]
	v_add_f64 v[26:27], v[26:27], v[32:33]
	v_fma_f64 v[32:33], v[24:25], s[22:23], -v[36:37]
	v_mul_f64 v[36:37], v[22:23], s[36:37]
	v_add_f64 v[32:33], v[32:33], v[44:45]
	v_fma_f64 v[44:45], v[38:39], s[24:25], -v[36:37]
	v_mul_f64 v[50:51], v[20:21], s[36:37]
	v_fmac_f64_e32 v[36:37], s[24:25], v[38:39]
	v_add_f64 v[44:45], v[44:45], v[52:53]
	v_fma_f64 v[52:53], s[24:25], v[24:25], v[50:51]
	v_add_f64 v[36:37], v[36:37], v[46:47]
	v_fma_f64 v[46:47], v[24:25], s[24:25], -v[50:51]
	v_mul_f64 v[50:51], v[22:23], s[16:17]
	v_add_f64 v[48:49], v[48:49], v[56:57]
	v_add_f64 v[46:47], v[46:47], v[54:55]
	v_fma_f64 v[54:55], v[38:39], s[10:11], -v[50:51]
	v_mul_f64 v[56:57], v[20:21], s[16:17]
	v_fmac_f64_e32 v[50:51], s[10:11], v[38:39]
	v_add_f64 v[54:55], v[54:55], v[60:61]
	v_fma_f64 v[60:61], s[10:11], v[24:25], v[56:57]
	v_add_f64 v[50:51], v[50:51], v[58:59]
	v_fma_f64 v[56:57], v[24:25], s[10:11], -v[56:57]
	v_mul_f64 v[58:59], v[22:23], s[6:7]
	v_add_f64 v[56:57], v[56:57], v[62:63]
	v_fma_f64 v[62:63], v[38:39], s[2:3], -v[58:59]
	v_add_f64 v[30:31], v[62:63], v[30:31]
	v_mul_f64 v[62:63], v[20:21], s[6:7]
	v_fmac_f64_e32 v[58:59], s[2:3], v[38:39]
	s_mov_b32 s39, 0x3fcea1e5
	s_mov_b32 s38, s30
	v_add_f64 v[52:53], v[52:53], v[66:67]
	v_fma_f64 v[66:67], s[2:3], v[24:25], v[62:63]
	v_add_f64 v[28:29], v[58:59], v[28:29]
	v_fma_f64 v[58:59], v[24:25], s[2:3], -v[62:63]
	v_mul_f64 v[62:63], v[22:23], s[38:39]
	s_mov_b32 s37, 0x3fea55e2
	s_mov_b32 s36, s20
	v_add_f64 v[84:85], v[84:85], v[92:93]
	v_add_f64 v[60:61], v[60:61], v[70:71]
	;; [unrolled: 1-line block ×3, first 2 shown]
	v_fma_f64 v[64:65], v[38:39], s[28:29], -v[62:63]
	v_mul_f64 v[70:71], v[20:21], s[38:39]
	v_fmac_f64_e32 v[62:63], s[28:29], v[38:39]
	v_mul_f64 v[22:23], v[22:23], s[36:37]
	v_add_f64 v[72:73], v[72:73], v[84:85]
	v_add_f64 v[64:65], v[64:65], v[74:75]
	v_fma_f64 v[74:75], s[28:29], v[24:25], v[70:71]
	v_add_f64 v[62:63], v[62:63], v[68:69]
	v_fma_f64 v[68:69], v[24:25], s[28:29], -v[70:71]
	v_fma_f64 v[70:71], v[38:39], s[8:9], -v[22:23]
	v_mul_f64 v[20:21], v[20:21], s[36:37]
	v_fmac_f64_e32 v[22:23], s[8:9], v[38:39]
	v_add_f64 v[68:69], v[68:69], v[72:73]
	v_fma_f64 v[72:73], s[8:9], v[24:25], v[20:21]
	v_add_f64 v[16:17], v[22:23], v[16:17]
	v_fma_f64 v[20:21], v[24:25], s[8:9], -v[20:21]
	v_add_f64 v[22:23], v[10:11], v[14:15]
	v_add_f64 v[10:11], v[10:11], -v[14:15]
	v_add_f64 v[18:19], v[20:21], v[18:19]
	v_add_f64 v[20:21], v[8:9], v[12:13]
	v_add_f64 v[8:9], v[8:9], -v[12:13]
	v_mul_f64 v[12:13], v[10:11], s[26:27]
	v_fma_f64 v[14:15], v[20:21], s[24:25], -v[12:13]
	v_mul_f64 v[24:25], v[8:9], s[26:27]
	v_fmac_f64_e32 v[12:13], s[24:25], v[20:21]
	v_add_f64 v[14:15], v[14:15], v[34:35]
	v_fma_f64 v[34:35], s[24:25], v[22:23], v[24:25]
	v_add_f64 v[12:13], v[12:13], v[26:27]
	v_fma_f64 v[24:25], v[22:23], s[24:25], -v[24:25]
	v_mul_f64 v[26:27], v[10:11], s[34:35]
	v_add_f64 v[24:25], v[24:25], v[32:33]
	v_fma_f64 v[32:33], v[20:21], s[2:3], -v[26:27]
	v_mul_f64 v[38:39], v[8:9], s[34:35]
	v_fmac_f64_e32 v[26:27], s[2:3], v[20:21]
	v_add_f64 v[32:33], v[32:33], v[44:45]
	v_fma_f64 v[44:45], s[2:3], v[22:23], v[38:39]
	v_add_f64 v[26:27], v[26:27], v[36:37]
	v_fma_f64 v[36:37], v[22:23], s[2:3], -v[38:39]
	v_mul_f64 v[38:39], v[10:11], s[20:21]
	v_add_f64 v[52:53], v[44:45], v[52:53]
	v_fma_f64 v[44:45], v[20:21], s[8:9], -v[38:39]
	v_add_f64 v[54:55], v[44:45], v[54:55]
	v_mul_f64 v[44:45], v[8:9], s[20:21]
	v_add_f64 v[36:37], v[36:37], v[46:47]
	v_fma_f64 v[46:47], s[8:9], v[22:23], v[44:45]
	v_fma_f64 v[44:45], v[22:23], s[8:9], -v[44:45]
	v_add_f64 v[56:57], v[44:45], v[56:57]
	v_mul_f64 v[44:45], v[10:11], s[38:39]
	v_add_f64 v[60:61], v[46:47], v[60:61]
	v_fma_f64 v[46:47], v[20:21], s[28:29], -v[44:45]
	v_add_f64 v[30:31], v[46:47], v[30:31]
	v_mul_f64 v[46:47], v[8:9], s[38:39]
	v_fmac_f64_e32 v[44:45], s[28:29], v[20:21]
	v_add_f64 v[28:29], v[44:45], v[28:29]
	v_fma_f64 v[44:45], v[22:23], s[28:29], -v[46:47]
	v_add_f64 v[84:85], v[44:45], v[58:59]
	v_mul_f64 v[44:45], v[10:11], s[16:17]
	v_add_f64 v[34:35], v[34:35], v[48:49]
	v_fma_f64 v[48:49], s[28:29], v[22:23], v[46:47]
	v_fma_f64 v[46:47], v[20:21], s[10:11], -v[44:45]
	v_add_f64 v[88:89], v[88:89], v[94:95]
	v_add_f64 v[64:65], v[46:47], v[64:65]
	v_mul_f64 v[46:47], v[8:9], s[16:17]
	v_fmac_f64_e32 v[44:45], s[10:11], v[20:21]
	v_add_f64 v[90:91], v[96:97], v[90:91]
	v_add_f64 v[80:81], v[80:81], v[88:89]
	;; [unrolled: 1-line block ×3, first 2 shown]
	v_fma_f64 v[44:45], v[22:23], s[10:11], -v[46:47]
	v_mul_f64 v[10:11], v[10:11], s[18:19]
	v_add_f64 v[82:83], v[82:83], v[90:91]
	v_add_f64 v[70:71], v[70:71], v[76:77]
	;; [unrolled: 1-line block ×3, first 2 shown]
	v_fma_f64 v[44:45], v[20:21], s[22:23], -v[10:11]
	v_mul_f64 v[8:9], v[8:9], s[18:19]
	v_add_f64 v[92:93], v[44:45], v[70:71]
	v_fma_f64 v[44:45], s[22:23], v[22:23], v[8:9]
	v_fma_f64 v[8:9], v[22:23], s[22:23], -v[8:9]
	v_fmac_f64_e32 v[10:11], s[22:23], v[20:21]
	v_add_f64 v[8:9], v[8:9], v[18:19]
	v_add_f64 v[18:19], v[2:3], v[6:7]
	v_add_f64 v[2:3], v[2:3], -v[6:7]
	v_add_f64 v[10:11], v[10:11], v[16:17]
	v_add_f64 v[16:17], v[0:1], v[4:5]
	v_add_f64 v[0:1], v[0:1], -v[4:5]
	v_mul_f64 v[4:5], v[2:3], s[30:31]
	v_add_f64 v[72:73], v[72:73], v[80:81]
	v_fma_f64 v[6:7], v[16:17], s[28:29], -v[4:5]
	v_add_f64 v[94:95], v[44:45], v[72:73]
	v_add_f64 v[44:45], v[6:7], v[14:15]
	v_mul_f64 v[6:7], v[0:1], s[30:31]
	v_fmac_f64_e32 v[4:5], s[28:29], v[16:17]
	v_add_f64 v[78:79], v[78:79], v[86:87]
	v_add_f64 v[80:81], v[4:5], v[12:13]
	v_fma_f64 v[4:5], v[18:19], s[28:29], -v[6:7]
	v_add_f64 v[66:67], v[66:67], v[78:79]
	v_add_f64 v[74:75], v[74:75], v[82:83]
	;; [unrolled: 1-line block ×3, first 2 shown]
	v_mul_f64 v[4:5], v[2:3], s[16:17]
	v_add_f64 v[66:67], v[48:49], v[66:67]
	v_fma_f64 v[48:49], s[10:11], v[22:23], v[46:47]
	v_fma_f64 v[14:15], s[28:29], v[18:19], v[6:7]
	v_fma_f64 v[6:7], v[16:17], s[10:11], -v[4:5]
	v_add_f64 v[86:87], v[48:49], v[74:75]
	v_add_f64 v[48:49], v[6:7], v[32:33]
	v_mul_f64 v[6:7], v[0:1], s[16:17]
	v_fmac_f64_e32 v[4:5], s[10:11], v[16:17]
	v_add_f64 v[76:77], v[4:5], v[26:27]
	v_fma_f64 v[4:5], v[18:19], s[10:11], -v[6:7]
	v_add_f64 v[78:79], v[4:5], v[36:37]
	v_mul_f64 v[4:5], v[2:3], s[26:27]
	v_fmac_f64_e32 v[38:39], s[8:9], v[20:21]
	v_fma_f64 v[12:13], s[10:11], v[18:19], v[6:7]
	v_fma_f64 v[6:7], v[16:17], s[24:25], -v[4:5]
	v_add_f64 v[38:39], v[38:39], v[50:51]
	v_add_f64 v[50:51], v[12:13], v[52:53]
	;; [unrolled: 1-line block ×3, first 2 shown]
	v_mul_f64 v[6:7], v[0:1], s[26:27]
	v_fmac_f64_e32 v[4:5], s[24:25], v[16:17]
	v_add_f64 v[68:69], v[4:5], v[38:39]
	v_fma_f64 v[4:5], v[18:19], s[24:25], -v[6:7]
	v_add_f64 v[70:71], v[4:5], v[56:57]
	v_mul_f64 v[4:5], v[2:3], s[36:37]
	v_fma_f64 v[12:13], s[24:25], v[18:19], v[6:7]
	v_fma_f64 v[6:7], v[16:17], s[8:9], -v[4:5]
	v_add_f64 v[56:57], v[6:7], v[30:31]
	v_mul_f64 v[6:7], v[0:1], s[36:37]
	v_fmac_f64_e32 v[4:5], s[8:9], v[16:17]
	v_add_f64 v[72:73], v[4:5], v[28:29]
	v_fma_f64 v[4:5], v[18:19], s[8:9], -v[6:7]
	v_add_f64 v[74:75], v[4:5], v[84:85]
	v_mul_f64 v[4:5], v[2:3], s[18:19]
	v_add_f64 v[54:55], v[12:13], v[60:61]
	v_fma_f64 v[12:13], s[8:9], v[18:19], v[6:7]
	v_fma_f64 v[6:7], v[16:17], s[22:23], -v[4:5]
	s_load_dwordx2 s[6:7], s[0:1], 0x8
	v_add_f64 v[60:61], v[6:7], v[64:65]
	v_mul_f64 v[6:7], v[0:1], s[18:19]
	v_fmac_f64_e32 v[4:5], s[22:23], v[16:17]
	v_add_f64 v[58:59], v[12:13], v[66:67]
	v_fma_f64 v[12:13], s[22:23], v[18:19], v[6:7]
	v_add_f64 v[84:85], v[4:5], v[88:89]
	v_fma_f64 v[4:5], v[18:19], s[22:23], -v[6:7]
	v_mul_f64 v[2:3], v[2:3], s[34:35]
	v_add_f64 v[62:63], v[12:13], v[86:87]
	v_add_f64 v[86:87], v[4:5], v[90:91]
	v_fma_f64 v[4:5], v[16:17], s[2:3], -v[2:3]
	v_mul_f64 v[0:1], v[0:1], s[34:35]
	v_add_f64 v[64:65], v[4:5], v[92:93]
	v_fma_f64 v[4:5], s[2:3], v[18:19], v[0:1]
	v_fmac_f64_e32 v[2:3], s[2:3], v[16:17]
	v_fma_f64 v[0:1], v[18:19], s[2:3], -v[0:1]
	v_add_f64 v[46:47], v[14:15], v[34:35]
	v_add_f64 v[66:67], v[4:5], v[94:95]
	;; [unrolled: 1-line block ×4, first 2 shown]
	v_mul_lo_u16_e32 v202, 13, v147
	s_waitcnt lgkmcnt(0)
	s_barrier
	s_and_saveexec_b64 s[2:3], s[4:5]
	s_cbranch_execz .LBB0_7
; %bb.6:
	v_lshlrev_b32_e32 v0, 4, v202
	ds_write_b128 v0, v[40:43]
	ds_write_b128 v0, v[44:47] offset:16
	ds_write_b128 v0, v[48:51] offset:32
	;; [unrolled: 1-line block ×12, first 2 shown]
.LBB0_7:
	s_or_b64 exec, exec, s[2:3]
	s_load_dwordx2 s[0:1], s[0:1], 0x20
	s_movk_i32 s2, 0x82
	v_cmp_gt_u16_e64 s[2:3], s2, v147
	s_waitcnt lgkmcnt(0)
	s_barrier
	s_and_saveexec_b64 s[8:9], s[2:3]
	s_cbranch_execz .LBB0_9
; %bb.8:
	ds_read_b128 v[40:43], v144
	ds_read_b128 v[44:47], v144 offset:2080
	ds_read_b128 v[48:51], v144 offset:4160
	;; [unrolled: 1-line block ×10, first 2 shown]
.LBB0_9:
	s_or_b64 exec, exec, s[8:9]
	s_movk_i32 s8, 0x4f
	v_mul_lo_u16_sdwa v0, v147, s8 dst_sel:DWORD dst_unused:UNUSED_PAD src0_sel:BYTE_0 src1_sel:DWORD
	v_lshrrev_b16_e32 v200, 10, v0
	v_mul_lo_u16_e32 v0, 13, v200
	v_sub_u16_e32 v0, v147, v0
	v_and_b32_e32 v201, 0xff, v0
	v_mul_u32_u24_e32 v0, 10, v201
	v_lshlrev_b32_e32 v92, 4, v0
	global_load_dwordx4 v[0:3], v92, s[6:7]
	global_load_dwordx4 v[4:7], v92, s[6:7] offset:16
	global_load_dwordx4 v[8:11], v92, s[6:7] offset:32
	;; [unrolled: 1-line block ×9, first 2 shown]
	s_mov_b32 s20, 0xf8bb580b
	s_mov_b32 s8, 0x8764f0ba
	;; [unrolled: 1-line block ×20, first 2 shown]
	s_waitcnt lgkmcnt(0)
	s_barrier
	s_waitcnt vmcnt(9)
	v_mul_f64 v[110:111], v[46:47], v[2:3]
	v_mul_f64 v[92:93], v[44:45], v[2:3]
	s_waitcnt vmcnt(8)
	v_mul_f64 v[112:113], v[50:51], v[6:7]
	v_mul_f64 v[94:95], v[48:49], v[6:7]
	v_fma_f64 v[110:111], v[44:45], v[0:1], -v[110:111]
	s_waitcnt vmcnt(4)
	v_mul_f64 v[102:103], v[64:65], v[34:35]
	s_waitcnt vmcnt(3)
	v_mul_f64 v[104:105], v[88:89], v[30:31]
	v_fmac_f64_e32 v[92:93], v[46:47], v[0:1]
	s_waitcnt vmcnt(1)
	v_mul_f64 v[128:129], v[74:75], v[26:27]
	s_waitcnt vmcnt(0)
	v_mul_f64 v[130:131], v[70:71], v[18:19]
	v_mul_f64 v[116:117], v[68:69], v[18:19]
	;; [unrolled: 1-line block ×3, first 2 shown]
	v_fma_f64 v[68:69], v[68:69], v[16:17], -v[130:131]
	v_fmac_f64_e32 v[116:117], v[70:71], v[16:17]
	v_mul_f64 v[114:115], v[54:55], v[10:11]
	v_mul_f64 v[96:97], v[52:53], v[10:11]
	;; [unrolled: 1-line block ×9, first 2 shown]
	v_fma_f64 v[112:113], v[48:49], v[4:5], -v[112:113]
	v_fmac_f64_e32 v[94:95], v[50:51], v[4:5]
	v_fmac_f64_e32 v[102:103], v[66:67], v[32:33]
	v_fmac_f64_e32 v[104:105], v[90:91], v[28:29]
	v_fma_f64 v[66:67], v[72:73], v[24:25], -v[128:129]
	v_fmac_f64_e32 v[108:109], v[74:75], v[24:25]
	v_add_f64 v[90:91], v[110:111], -v[68:69]
	v_add_f64 v[130:131], v[92:93], -v[116:117]
	v_mul_f64 v[118:119], v[58:59], v[14:15]
	v_fma_f64 v[114:115], v[52:53], v[8:9], -v[114:115]
	v_fmac_f64_e32 v[96:97], v[54:55], v[8:9]
	v_fmac_f64_e32 v[98:99], v[58:59], v[12:13]
	v_fma_f64 v[58:59], v[60:61], v[36:37], -v[120:121]
	v_fmac_f64_e32 v[100:101], v[62:63], v[36:37]
	v_fma_f64 v[60:61], v[64:65], v[32:33], -v[122:123]
	v_fma_f64 v[62:63], v[88:89], v[28:29], -v[124:125]
	;; [unrolled: 1-line block ×3, first 2 shown]
	v_fmac_f64_e32 v[106:107], v[86:87], v[20:21]
	v_add_f64 v[70:71], v[110:111], v[68:69]
	v_add_f64 v[138:139], v[92:93], v[116:117]
	v_add_f64 v[122:123], v[112:113], -v[66:67]
	v_add_f64 v[132:133], v[94:95], -v[108:109]
	v_mul_f64 v[88:89], v[130:131], s[20:21]
	v_mul_f64 v[124:125], v[90:91], s[20:21]
	v_fma_f64 v[56:57], v[56:57], v[12:13], -v[118:119]
	v_add_f64 v[72:73], v[112:113], v[66:67]
	v_add_f64 v[148:149], v[94:95], v[108:109]
	v_add_f64 v[136:137], v[96:97], -v[106:107]
	v_mul_f64 v[118:119], v[132:133], s[16:17]
	v_mul_f64 v[126:127], v[122:123], s[16:17]
	v_fma_f64 v[44:45], s[8:9], v[70:71], v[88:89]
	v_fma_f64 v[46:47], v[138:139], s[8:9], -v[124:125]
	v_add_f64 v[150:151], v[114:115], -v[64:65]
	v_add_f64 v[74:75], v[114:115], v[64:65]
	v_add_f64 v[140:141], v[96:97], v[106:107]
	v_mul_f64 v[120:121], v[136:137], s[24:25]
	v_fma_f64 v[48:49], s[10:11], v[72:73], v[118:119]
	v_fma_f64 v[50:51], v[148:149], s[10:11], -v[126:127]
	v_add_f64 v[44:45], v[40:41], v[44:45]
	v_add_f64 v[46:47], v[42:43], v[46:47]
	v_mul_f64 v[128:129], v[150:151], s[24:25]
	v_add_f64 v[166:167], v[98:99], -v[104:105]
	v_fma_f64 v[52:53], s[18:19], v[74:75], v[120:121]
	v_add_f64 v[44:45], v[48:49], v[44:45]
	v_add_f64 v[46:47], v[50:51], v[46:47]
	v_fma_f64 v[48:49], v[140:141], s[18:19], -v[128:129]
	v_add_f64 v[142:143], v[56:57], v[62:63]
	v_mul_f64 v[134:135], v[166:167], s[28:29]
	v_add_f64 v[160:161], v[56:57], -v[62:63]
	v_add_f64 v[44:45], v[52:53], v[44:45]
	v_add_f64 v[46:47], v[48:49], v[46:47]
	v_fma_f64 v[48:49], s[26:27], v[142:143], v[134:135]
	v_add_f64 v[164:165], v[98:99], v[104:105]
	v_mul_f64 v[152:153], v[160:161], s[28:29]
	v_add_f64 v[172:173], v[100:101], -v[102:103]
	v_add_f64 v[44:45], v[48:49], v[44:45]
	v_fma_f64 v[48:49], v[164:165], s[26:27], -v[152:153]
	v_add_f64 v[158:159], v[58:59], v[60:61]
	v_mul_f64 v[154:155], v[172:173], s[34:35]
	v_add_f64 v[170:171], v[58:59], -v[60:61]
	v_add_f64 v[46:47], v[48:49], v[46:47]
	v_fma_f64 v[48:49], s[30:31], v[158:159], v[154:155]
	v_add_f64 v[168:169], v[100:101], v[102:103]
	v_mul_f64 v[162:163], v[170:171], s[34:35]
	v_add_f64 v[84:85], v[48:49], v[44:45]
	v_fma_f64 v[44:45], v[168:169], s[30:31], -v[162:163]
	v_add_f64 v[86:87], v[44:45], v[46:47]
	s_and_saveexec_b64 s[22:23], s[2:3]
	s_cbranch_execz .LBB0_11
; %bb.10:
	v_mul_f64 v[178:179], v[138:139], s[30:31]
	s_mov_b32 s39, 0x3fd207e7
	s_mov_b32 s38, s34
	v_mul_f64 v[174:175], v[148:149], s[8:9]
	v_fma_f64 v[180:181], s[38:39], v[90:91], v[178:179]
	s_mov_b32 s41, 0x3fe14ced
	s_mov_b32 s40, s20
	v_fmac_f64_e32 v[178:179], s[34:35], v[90:91]
	v_mul_f64 v[52:53], v[140:141], s[26:27]
	s_mov_b32 s43, 0x3fe82f19
	s_mov_b32 s42, s28
	v_fma_f64 v[176:177], s[20:21], v[122:123], v[174:175]
	v_add_f64 v[180:181], v[42:43], v[180:181]
	v_mul_f64 v[190:191], v[130:131], s[34:35]
	v_fmac_f64_e32 v[174:175], s[40:41], v[122:123]
	v_add_f64 v[178:179], v[42:43], v[178:179]
	v_mul_f64 v[50:51], v[164:165], s[10:11]
	v_fma_f64 v[54:55], s[42:43], v[150:151], v[52:53]
	v_add_f64 v[176:177], v[176:177], v[180:181]
	s_mov_b32 s45, 0x3fed1bb4
	s_mov_b32 s44, s16
	v_mul_f64 v[186:187], v[132:133], s[40:41]
	v_fma_f64 v[192:193], s[30:31], v[70:71], v[190:191]
	v_fmac_f64_e32 v[52:53], s[28:29], v[150:151]
	v_add_f64 v[174:175], v[174:175], v[178:179]
	v_mul_f64 v[48:49], v[168:169], s[18:19]
	s_mov_b32 s37, 0x3fefac9e
	s_mov_b32 s36, s24
	v_fma_f64 v[46:47], s[16:17], v[160:161], v[50:51]
	v_add_f64 v[54:55], v[54:55], v[176:177]
	v_mul_f64 v[176:177], v[166:167], s[44:45]
	v_mul_f64 v[182:183], v[136:137], s[28:29]
	v_fma_f64 v[188:189], s[8:9], v[72:73], v[186:187]
	v_add_f64 v[192:193], v[40:41], v[192:193]
	v_fmac_f64_e32 v[50:51], s[44:45], v[160:161]
	v_add_f64 v[52:53], v[52:53], v[174:175]
	v_fma_f64 v[44:45], s[36:37], v[170:171], v[48:49]
	v_add_f64 v[46:47], v[46:47], v[54:55]
	v_mul_f64 v[54:55], v[172:173], s[24:25]
	v_fma_f64 v[180:181], s[10:11], v[142:143], v[176:177]
	v_fma_f64 v[184:185], s[26:27], v[74:75], v[182:183]
	v_add_f64 v[188:189], v[188:189], v[192:193]
	v_fmac_f64_e32 v[48:49], s[24:25], v[170:171]
	v_add_f64 v[50:51], v[50:51], v[52:53]
	v_fma_f64 v[52:53], v[142:143], s[10:11], -v[176:177]
	v_fma_f64 v[174:175], v[72:73], s[8:9], -v[186:187]
	;; [unrolled: 1-line block ×3, first 2 shown]
	v_mul_f64 v[186:187], v[138:139], s[26:27]
	v_add_f64 v[46:47], v[44:45], v[46:47]
	v_fma_f64 v[44:45], s[18:19], v[158:159], v[54:55]
	v_add_f64 v[184:185], v[184:185], v[188:189]
	v_add_f64 v[50:51], v[48:49], v[50:51]
	v_fma_f64 v[48:49], v[158:159], s[18:19], -v[54:55]
	v_fma_f64 v[54:55], v[74:75], s[26:27], -v[182:183]
	v_add_f64 v[176:177], v[40:41], v[176:177]
	v_mul_f64 v[182:183], v[148:149], s[18:19]
	v_fma_f64 v[188:189], s[42:43], v[90:91], v[186:187]
	v_fmac_f64_e32 v[186:187], s[28:29], v[90:91]
	v_add_f64 v[180:181], v[180:181], v[184:185]
	v_add_f64 v[174:175], v[174:175], v[176:177]
	v_mul_f64 v[178:179], v[140:141], s[8:9]
	v_fma_f64 v[184:185], s[24:25], v[122:123], v[182:183]
	v_add_f64 v[188:189], v[42:43], v[188:189]
	v_mul_f64 v[198:199], v[130:131], s[28:29]
	v_fmac_f64_e32 v[182:183], s[36:37], v[122:123]
	v_add_f64 v[186:187], v[42:43], v[186:187]
	v_add_f64 v[44:45], v[44:45], v[180:181]
	;; [unrolled: 1-line block ×3, first 2 shown]
	v_mul_f64 v[176:177], v[164:165], s[30:31]
	v_fma_f64 v[180:181], s[40:41], v[150:151], v[178:179]
	v_add_f64 v[184:185], v[184:185], v[188:189]
	v_mul_f64 v[194:195], v[132:133], s[36:37]
	v_fma_f64 v[204:205], s[26:27], v[70:71], v[198:199]
	v_fmac_f64_e32 v[178:179], s[20:21], v[150:151]
	v_add_f64 v[182:183], v[182:183], v[186:187]
	v_add_f64 v[52:53], v[52:53], v[54:55]
	v_mul_f64 v[174:175], v[168:169], s[10:11]
	v_fma_f64 v[54:55], s[38:39], v[160:161], v[176:177]
	v_add_f64 v[180:181], v[180:181], v[184:185]
	v_mul_f64 v[184:185], v[166:167], s[34:35]
	v_mul_f64 v[190:191], v[136:137], s[20:21]
	v_fma_f64 v[196:197], s[18:19], v[72:73], v[194:195]
	v_add_f64 v[204:205], v[40:41], v[204:205]
	v_fmac_f64_e32 v[176:177], s[34:35], v[160:161]
	v_add_f64 v[178:179], v[178:179], v[182:183]
	v_add_f64 v[48:49], v[48:49], v[52:53]
	v_fma_f64 v[52:53], s[16:17], v[170:171], v[174:175]
	v_add_f64 v[54:55], v[54:55], v[180:181]
	v_mul_f64 v[180:181], v[172:173], s[44:45]
	v_fma_f64 v[188:189], s[30:31], v[142:143], v[184:185]
	v_fma_f64 v[192:193], s[8:9], v[74:75], v[190:191]
	v_add_f64 v[196:197], v[196:197], v[204:205]
	v_fmac_f64_e32 v[174:175], s[44:45], v[170:171]
	v_add_f64 v[176:177], v[176:177], v[178:179]
	v_fma_f64 v[178:179], v[142:143], s[30:31], -v[184:185]
	v_fma_f64 v[182:183], v[72:73], s[18:19], -v[194:195]
	;; [unrolled: 1-line block ×3, first 2 shown]
	v_mul_f64 v[194:195], v[138:139], s[18:19]
	v_add_f64 v[54:55], v[52:53], v[54:55]
	v_fma_f64 v[52:53], s[10:11], v[158:159], v[180:181]
	v_add_f64 v[192:193], v[192:193], v[196:197]
	v_add_f64 v[176:177], v[174:175], v[176:177]
	v_fma_f64 v[174:175], v[158:159], s[10:11], -v[180:181]
	v_fma_f64 v[180:181], v[74:75], s[8:9], -v[190:191]
	v_add_f64 v[184:185], v[40:41], v[184:185]
	v_mul_f64 v[190:191], v[148:149], s[30:31]
	v_fma_f64 v[196:197], s[36:37], v[90:91], v[194:195]
	v_add_f64 v[188:189], v[188:189], v[192:193]
	v_add_f64 v[182:183], v[182:183], v[184:185]
	v_mul_f64 v[186:187], v[140:141], s[10:11]
	v_fma_f64 v[192:193], s[34:35], v[122:123], v[190:191]
	v_add_f64 v[196:197], v[42:43], v[196:197]
	v_add_f64 v[52:53], v[52:53], v[188:189]
	;; [unrolled: 1-line block ×3, first 2 shown]
	v_mul_f64 v[184:185], v[164:165], s[8:9]
	v_fma_f64 v[188:189], s[16:17], v[150:151], v[186:187]
	v_add_f64 v[192:193], v[192:193], v[196:197]
	v_add_f64 v[178:179], v[178:179], v[180:181]
	v_mul_f64 v[182:183], v[168:169], s[26:27]
	v_fma_f64 v[180:181], s[40:41], v[160:161], v[184:185]
	v_add_f64 v[188:189], v[188:189], v[192:193]
	v_mul_f64 v[204:205], v[130:131], s[24:25]
	v_fmac_f64_e32 v[194:195], s[24:25], v[90:91]
	v_add_f64 v[174:175], v[174:175], v[178:179]
	v_fma_f64 v[178:179], s[42:43], v[170:171], v[182:183]
	v_add_f64 v[180:181], v[180:181], v[188:189]
	v_mul_f64 v[198:199], v[132:133], s[38:39]
	v_fma_f64 v[206:207], s[18:19], v[70:71], v[204:205]
	v_fmac_f64_e32 v[190:191], s[38:39], v[122:123]
	v_add_f64 v[194:195], v[42:43], v[194:195]
	v_add_f64 v[180:181], v[178:179], v[180:181]
	v_mul_f64 v[196:197], v[136:137], s[44:45]
	v_fma_f64 v[178:179], s[30:31], v[72:73], v[198:199]
	v_add_f64 v[206:207], v[40:41], v[206:207]
	v_add_f64 v[190:191], v[190:191], v[194:195]
	v_fmac_f64_e32 v[186:187], s[44:45], v[150:151]
	v_mul_f64 v[192:193], v[166:167], s[20:21]
	v_add_f64 v[178:179], v[178:179], v[206:207]
	v_fma_f64 v[206:207], s[10:11], v[74:75], v[196:197]
	v_add_f64 v[186:187], v[186:187], v[190:191]
	v_fmac_f64_e32 v[184:185], s[20:21], v[160:161]
	v_mul_f64 v[188:189], v[172:173], s[28:29]
	v_add_f64 v[178:179], v[206:207], v[178:179]
	v_fma_f64 v[206:207], s[8:9], v[142:143], v[192:193]
	v_add_f64 v[184:185], v[184:185], v[186:187]
	v_fma_f64 v[186:187], v[142:143], s[8:9], -v[192:193]
	v_fma_f64 v[192:193], v[70:71], s[18:19], -v[204:205]
	v_add_f64 v[178:179], v[206:207], v[178:179]
	v_fma_f64 v[206:207], s[26:27], v[158:159], v[188:189]
	v_fmac_f64_e32 v[182:183], s[28:29], v[170:171]
	v_fma_f64 v[190:191], v[72:73], s[30:31], -v[198:199]
	v_add_f64 v[192:193], v[40:41], v[192:193]
	v_mul_f64 v[204:205], v[138:139], s[10:11]
	v_add_f64 v[178:179], v[206:207], v[178:179]
	v_mul_f64 v[206:207], v[138:139], s[8:9]
	v_mul_f64 v[194:195], v[148:149], s[10:11]
	v_add_f64 v[184:185], v[182:183], v[184:185]
	v_fma_f64 v[182:183], v[158:159], s[26:27], -v[188:189]
	v_fma_f64 v[188:189], v[74:75], s[10:11], -v[196:197]
	v_add_f64 v[190:191], v[190:191], v[192:193]
	v_mul_f64 v[148:149], v[148:149], s[26:27]
	v_fma_f64 v[138:139], s[44:45], v[90:91], v[204:205]
	v_add_f64 v[188:189], v[188:189], v[190:191]
	v_mul_f64 v[196:197], v[140:141], s[30:31]
	v_fma_f64 v[198:199], s[42:43], v[122:123], v[148:149]
	v_add_f64 v[138:139], v[42:43], v[138:139]
	v_add_f64 v[186:187], v[186:187], v[188:189]
	v_mul_f64 v[190:191], v[164:165], s[18:19]
	v_add_f64 v[138:139], v[198:199], v[138:139]
	v_fma_f64 v[198:199], s[34:35], v[150:151], v[196:197]
	v_add_f64 v[182:183], v[182:183], v[186:187]
	v_mul_f64 v[186:187], v[168:169], s[8:9]
	v_fma_f64 v[192:193], s[24:25], v[160:161], v[190:191]
	v_add_f64 v[138:139], v[198:199], v[138:139]
	v_fma_f64 v[188:189], s[20:21], v[170:171], v[186:187]
	v_add_f64 v[138:139], v[192:193], v[138:139]
	v_mul_f64 v[130:131], v[130:131], s[16:17]
	v_mul_f64 v[156:157], v[70:71], s[8:9]
	v_add_f64 v[138:139], v[188:189], v[138:139]
	v_mul_f64 v[188:189], v[136:137], s[38:39]
	v_mul_f64 v[192:193], v[132:133], s[28:29]
	v_fma_f64 v[136:137], s[10:11], v[70:71], v[130:131]
	v_fma_f64 v[70:71], v[70:71], s[10:11], -v[130:131]
	v_mul_f64 v[208:209], v[72:73], s[10:11]
	v_fma_f64 v[132:133], s[26:27], v[72:73], v[192:193]
	v_add_f64 v[136:137], v[40:41], v[136:137]
	v_fma_f64 v[72:73], v[72:73], s[26:27], -v[192:193]
	v_add_f64 v[70:71], v[40:41], v[70:71]
	v_mul_f64 v[166:167], v[166:167], s[36:37]
	v_add_f64 v[132:133], v[132:133], v[136:137]
	v_fma_f64 v[136:137], s[30:31], v[74:75], v[188:189]
	v_mul_f64 v[198:199], v[74:75], s[18:19]
	v_fma_f64 v[74:75], v[74:75], s[30:31], -v[188:189]
	v_add_f64 v[70:71], v[72:73], v[70:71]
	v_fmac_f64_e32 v[148:149], s[28:29], v[122:123]
	v_fma_f64 v[122:123], v[142:143], s[18:19], -v[166:167]
	v_add_f64 v[70:71], v[74:75], v[70:71]
	v_fmac_f64_e32 v[204:205], s[16:17], v[90:91]
	v_add_f64 v[70:71], v[122:123], v[70:71]
	v_add_f64 v[122:123], v[124:125], v[206:207]
	v_add_f64 v[88:89], v[156:157], -v[88:89]
	v_add_f64 v[90:91], v[42:43], v[204:205]
	v_add_f64 v[122:123], v[42:43], v[122:123]
	;; [unrolled: 1-line block ×5, first 2 shown]
	v_fmac_f64_e32 v[196:197], s[38:39], v[150:151]
	v_add_f64 v[90:91], v[148:149], v[90:91]
	v_add_f64 v[42:43], v[42:43], v[94:95]
	;; [unrolled: 1-line block ×3, first 2 shown]
	v_mul_f64 v[172:173], v[172:173], s[40:41]
	v_add_f64 v[132:133], v[136:137], v[132:133]
	v_fma_f64 v[136:137], s[18:19], v[142:143], v[166:167]
	v_fmac_f64_e32 v[190:191], s[36:37], v[160:161]
	v_add_f64 v[90:91], v[196:197], v[90:91]
	v_add_f64 v[42:43], v[42:43], v[96:97]
	;; [unrolled: 1-line block ×4, first 2 shown]
	v_fma_f64 v[136:137], s[8:9], v[158:159], v[172:173]
	v_fmac_f64_e32 v[186:187], s[40:41], v[170:171]
	v_add_f64 v[90:91], v[190:191], v[90:91]
	v_add_f64 v[42:43], v[42:43], v[98:99]
	;; [unrolled: 1-line block ×5, first 2 shown]
	v_fma_f64 v[90:91], v[158:159], s[8:9], -v[172:173]
	v_add_f64 v[42:43], v[42:43], v[100:101]
	v_add_f64 v[40:41], v[40:41], v[58:59]
	v_mul_f64 v[140:141], v[140:141], s[18:19]
	v_add_f64 v[130:131], v[90:91], v[70:71]
	v_add_f64 v[90:91], v[126:127], v[194:195]
	v_add_f64 v[42:43], v[42:43], v[102:103]
	v_add_f64 v[40:41], v[40:41], v[60:61]
	v_mul_f64 v[164:165], v[164:165], s[26:27]
	v_add_f64 v[74:75], v[128:129], v[140:141]
	v_add_f64 v[90:91], v[90:91], v[122:123]
	v_add_f64 v[118:119], v[208:209], -v[118:119]
	v_add_f64 v[42:43], v[42:43], v[104:105]
	v_add_f64 v[40:41], v[40:41], v[62:63]
	v_mul_f64 v[210:211], v[142:143], s[26:27]
	v_mul_f64 v[168:169], v[168:169], s[30:31]
	v_add_f64 v[72:73], v[152:153], v[164:165]
	v_add_f64 v[74:75], v[74:75], v[90:91]
	v_add_f64 v[90:91], v[198:199], -v[120:121]
	v_add_f64 v[88:89], v[118:119], v[88:89]
	v_add_f64 v[42:43], v[42:43], v[106:107]
	;; [unrolled: 1-line block ×3, first 2 shown]
	v_mul_f64 v[170:171], v[158:159], s[30:31]
	v_add_f64 v[70:71], v[162:163], v[168:169]
	v_add_f64 v[72:73], v[72:73], v[74:75]
	v_add_f64 v[74:75], v[210:211], -v[134:135]
	v_add_f64 v[88:89], v[90:91], v[88:89]
	v_add_f64 v[42:43], v[42:43], v[108:109]
	;; [unrolled: 1-line block ×3, first 2 shown]
	v_mul_u32_u24_e32 v56, 0x8f, v200
	v_add_f64 v[72:73], v[70:71], v[72:73]
	v_add_f64 v[70:71], v[170:171], -v[154:155]
	v_add_f64 v[74:75], v[74:75], v[88:89]
	v_add_f64 v[42:43], v[42:43], v[116:117]
	;; [unrolled: 1-line block ×3, first 2 shown]
	v_add_lshl_u32 v56, v56, v201, 4
	v_add_f64 v[70:71], v[70:71], v[74:75]
	ds_write_b128 v56, v[40:43]
	ds_write_b128 v56, v[70:73] offset:208
	ds_write_b128 v56, v[130:133] offset:416
	;; [unrolled: 1-line block ×10, first 2 shown]
.LBB0_11:
	s_or_b64 exec, exec, s[22:23]
	s_load_dwordx4 s[8:11], s[0:1], 0x0
	s_movk_i32 s0, 0x90
	v_mov_b64_e32 v[40:41], s[6:7]
	v_mad_u64_u32 v[88:89], s[0:1], v147, s0, v[40:41]
	s_waitcnt lgkmcnt(0)
	s_barrier
	global_load_dwordx4 v[52:55], v[88:89], off offset:2080
	global_load_dwordx4 v[48:51], v[88:89], off offset:2096
	;; [unrolled: 1-line block ×9, first 2 shown]
	ds_read_b128 v[92:95], v144
	ds_read_b128 v[88:91], v144 offset:2288
	ds_read_b128 v[96:99], v144 offset:4576
	;; [unrolled: 1-line block ×9, first 2 shown]
	s_mov_b32 s18, 0x134454ff
	s_mov_b32 s19, 0x3fee6f0e
	s_mov_b32 s20, 0x4755a5e
	s_mov_b32 s7, 0xbfee6f0e
	s_mov_b32 s6, s18
	s_mov_b32 s21, 0x3fe2cf23
	s_mov_b32 s0, 0x372fe950
	s_mov_b32 s17, 0xbfe2cf23
	s_mov_b32 s16, s20
	s_mov_b32 s1, 0x3fd3c6ef
	s_mov_b32 s22, 0x9b97f4a8
	s_mov_b32 s23, 0x3fe9e377
	s_waitcnt vmcnt(8) lgkmcnt(8)
	v_mul_f64 v[128:129], v[90:91], v[54:55]
	s_waitcnt vmcnt(7) lgkmcnt(7)
	v_mul_f64 v[130:131], v[98:99], v[50:51]
	v_mul_f64 v[132:133], v[88:89], v[54:55]
	v_mul_f64 v[134:135], v[96:97], v[50:51]
	s_waitcnt vmcnt(6) lgkmcnt(6)
	v_mul_f64 v[136:137], v[102:103], v[46:47]
	s_waitcnt vmcnt(5) lgkmcnt(5)
	v_mul_f64 v[140:141], v[106:107], v[42:43]
	;; [unrolled: 2-line block ×4, first 2 shown]
	v_fma_f64 v[168:169], v[88:89], v[52:53], -v[128:129]
	v_fma_f64 v[88:89], v[96:97], v[48:49], -v[130:131]
	v_mul_f64 v[138:139], v[100:101], v[46:47]
	v_mul_f64 v[150:151], v[108:109], v[70:71]
	s_waitcnt vmcnt(1) lgkmcnt(1)
	v_mul_f64 v[162:163], v[120:121], v[58:59]
	v_fmac_f64_e32 v[132:133], v[90:91], v[52:53]
	v_fmac_f64_e32 v[134:135], v[98:99], v[48:49]
	v_fma_f64 v[90:91], v[100:101], v[44:45], -v[136:137]
	v_fma_f64 v[96:97], v[104:105], v[40:41], -v[140:141]
	v_fma_f64 v[98:99], v[108:109], v[68:69], -v[148:149]
	v_fma_f64 v[100:101], v[112:113], v[64:65], -v[152:153]
	v_add_f64 v[108:109], v[92:93], v[88:89]
	v_mul_f64 v[142:143], v[104:105], v[42:43]
	v_mul_f64 v[154:155], v[112:113], v[66:67]
	;; [unrolled: 1-line block ×3, first 2 shown]
	s_waitcnt vmcnt(0) lgkmcnt(0)
	v_mul_f64 v[164:165], v[126:127], v[74:75]
	v_fmac_f64_e32 v[150:151], v[110:111], v[68:69]
	v_fmac_f64_e32 v[162:163], v[122:123], v[56:57]
	v_add_f64 v[110:111], v[96:97], v[100:101]
	v_add_f64 v[108:109], v[108:109], v[96:97]
	v_mul_f64 v[156:157], v[118:119], v[62:63]
	v_mul_f64 v[158:159], v[116:117], v[62:63]
	;; [unrolled: 1-line block ×3, first 2 shown]
	v_fmac_f64_e32 v[142:143], v[106:107], v[40:41]
	v_fmac_f64_e32 v[154:155], v[114:115], v[64:65]
	v_fma_f64 v[104:105], v[120:121], v[56:57], -v[160:161]
	v_fma_f64 v[106:107], v[124:125], v[72:73], -v[164:165]
	v_add_f64 v[112:113], v[134:135], -v[162:163]
	v_fma_f64 v[124:125], -0.5, v[110:111], v[92:93]
	v_add_f64 v[108:109], v[108:109], v[100:101]
	v_fmac_f64_e32 v[138:139], v[102:103], v[44:45]
	v_fma_f64 v[102:103], v[116:117], v[60:61], -v[156:157]
	v_fmac_f64_e32 v[158:159], v[118:119], v[60:61]
	v_fmac_f64_e32 v[166:167], v[126:127], v[72:73]
	v_add_f64 v[114:115], v[142:143], -v[154:155]
	v_add_f64 v[116:117], v[88:89], -v[96:97]
	;; [unrolled: 1-line block ×3, first 2 shown]
	v_fma_f64 v[126:127], s[18:19], v[112:113], v[124:125]
	v_fmac_f64_e32 v[124:125], s[6:7], v[112:113]
	v_add_f64 v[136:137], v[108:109], v[104:105]
	v_add_f64 v[108:109], v[88:89], v[104:105]
	;; [unrolled: 1-line block ×3, first 2 shown]
	v_fmac_f64_e32 v[126:127], s[20:21], v[114:115]
	v_fmac_f64_e32 v[124:125], s[16:17], v[114:115]
	v_fmac_f64_e32 v[92:93], -0.5, v[108:109]
	v_fmac_f64_e32 v[126:127], s[0:1], v[110:111]
	v_fmac_f64_e32 v[124:125], s[0:1], v[110:111]
	v_fma_f64 v[140:141], s[6:7], v[114:115], v[92:93]
	v_add_f64 v[108:109], v[96:97], -v[88:89]
	v_add_f64 v[110:111], v[100:101], -v[104:105]
	v_fmac_f64_e32 v[92:93], s[18:19], v[114:115]
	v_fmac_f64_e32 v[140:141], s[20:21], v[112:113]
	v_add_f64 v[108:109], v[108:109], v[110:111]
	v_fmac_f64_e32 v[92:93], s[16:17], v[112:113]
	v_fmac_f64_e32 v[140:141], s[0:1], v[108:109]
	;; [unrolled: 1-line block ×3, first 2 shown]
	v_add_f64 v[108:109], v[94:95], v[134:135]
	v_add_f64 v[108:109], v[108:109], v[142:143]
	;; [unrolled: 1-line block ×5, first 2 shown]
	v_fma_f64 v[148:149], -0.5, v[108:109], v[94:95]
	v_add_f64 v[88:89], v[88:89], -v[104:105]
	v_fma_f64 v[152:153], s[6:7], v[88:89], v[148:149]
	v_add_f64 v[96:97], v[96:97], -v[100:101]
	v_add_f64 v[100:101], v[134:135], -v[142:143]
	;; [unrolled: 1-line block ×3, first 2 shown]
	v_fmac_f64_e32 v[148:149], s[18:19], v[88:89]
	v_fmac_f64_e32 v[152:153], s[16:17], v[96:97]
	v_add_f64 v[100:101], v[100:101], v[104:105]
	v_fmac_f64_e32 v[148:149], s[20:21], v[96:97]
	v_fmac_f64_e32 v[152:153], s[0:1], v[100:101]
	;; [unrolled: 1-line block ×3, first 2 shown]
	v_add_f64 v[100:101], v[134:135], v[162:163]
	v_fmac_f64_e32 v[94:95], -0.5, v[100:101]
	v_fma_f64 v[156:157], s[18:19], v[96:97], v[94:95]
	v_fmac_f64_e32 v[94:95], s[6:7], v[96:97]
	v_fmac_f64_e32 v[156:157], s[16:17], v[88:89]
	;; [unrolled: 1-line block ×3, first 2 shown]
	v_add_f64 v[88:89], v[168:169], v[90:91]
	v_add_f64 v[88:89], v[88:89], v[98:99]
	v_add_f64 v[100:101], v[142:143], -v[134:135]
	v_add_f64 v[104:105], v[154:155], -v[162:163]
	v_add_f64 v[88:89], v[88:89], v[102:103]
	v_add_f64 v[100:101], v[100:101], v[104:105]
	;; [unrolled: 1-line block ×4, first 2 shown]
	v_fmac_f64_e32 v[156:157], s[0:1], v[100:101]
	v_fmac_f64_e32 v[94:95], s[0:1], v[100:101]
	v_fma_f64 v[100:101], -0.5, v[88:89], v[168:169]
	v_add_f64 v[88:89], v[138:139], -v[166:167]
	v_fma_f64 v[104:105], s[18:19], v[88:89], v[100:101]
	v_add_f64 v[108:109], v[150:151], -v[158:159]
	v_add_f64 v[110:111], v[90:91], -v[98:99]
	;; [unrolled: 1-line block ×3, first 2 shown]
	v_fmac_f64_e32 v[100:101], s[6:7], v[88:89]
	v_fmac_f64_e32 v[104:105], s[20:21], v[108:109]
	v_add_f64 v[110:111], v[110:111], v[112:113]
	v_fmac_f64_e32 v[100:101], s[16:17], v[108:109]
	v_fmac_f64_e32 v[104:105], s[0:1], v[110:111]
	;; [unrolled: 1-line block ×3, first 2 shown]
	v_add_f64 v[110:111], v[90:91], v[106:107]
	v_fmac_f64_e32 v[168:169], -0.5, v[110:111]
	v_fma_f64 v[110:111], s[6:7], v[108:109], v[168:169]
	v_fmac_f64_e32 v[168:169], s[18:19], v[108:109]
	v_fmac_f64_e32 v[110:111], s[20:21], v[88:89]
	;; [unrolled: 1-line block ×3, first 2 shown]
	v_add_f64 v[88:89], v[132:133], v[138:139]
	v_add_f64 v[88:89], v[88:89], v[150:151]
	v_add_f64 v[112:113], v[98:99], -v[90:91]
	v_add_f64 v[116:117], v[102:103], -v[106:107]
	v_add_f64 v[88:89], v[88:89], v[158:159]
	v_add_f64 v[112:113], v[112:113], v[116:117]
	;; [unrolled: 1-line block ×4, first 2 shown]
	v_fmac_f64_e32 v[110:111], s[0:1], v[112:113]
	v_fmac_f64_e32 v[168:169], s[0:1], v[112:113]
	v_fma_f64 v[112:113], -0.5, v[88:89], v[132:133]
	v_add_f64 v[88:89], v[90:91], -v[106:107]
	v_fma_f64 v[106:107], s[6:7], v[88:89], v[112:113]
	v_add_f64 v[90:91], v[98:99], -v[102:103]
	v_add_f64 v[98:99], v[138:139], -v[150:151]
	;; [unrolled: 1-line block ×3, first 2 shown]
	v_fmac_f64_e32 v[112:113], s[18:19], v[88:89]
	v_fmac_f64_e32 v[106:107], s[16:17], v[90:91]
	v_add_f64 v[98:99], v[98:99], v[102:103]
	v_fmac_f64_e32 v[112:113], s[20:21], v[90:91]
	v_fmac_f64_e32 v[106:107], s[0:1], v[98:99]
	;; [unrolled: 1-line block ×3, first 2 shown]
	v_add_f64 v[98:99], v[138:139], v[166:167]
	v_fmac_f64_e32 v[132:133], -0.5, v[98:99]
	v_fma_f64 v[98:99], s[18:19], v[90:91], v[132:133]
	v_add_f64 v[102:103], v[150:151], -v[138:139]
	v_add_f64 v[108:109], v[158:159], -v[166:167]
	v_fmac_f64_e32 v[132:133], s[6:7], v[90:91]
	v_fmac_f64_e32 v[98:99], s[16:17], v[88:89]
	v_add_f64 v[102:103], v[102:103], v[108:109]
	v_fmac_f64_e32 v[132:133], s[20:21], v[88:89]
	v_fmac_f64_e32 v[98:99], s[0:1], v[102:103]
	;; [unrolled: 1-line block ×3, first 2 shown]
	v_mul_f64 v[158:159], v[110:111], s[6:7]
	v_mul_f64 v[138:139], v[98:99], s[18:19]
	;; [unrolled: 1-line block ×3, first 2 shown]
	v_fmac_f64_e32 v[158:159], s[0:1], v[98:99]
	v_mul_f64 v[98:99], v[132:133], s[0:1]
	v_mul_f64 v[102:103], v[106:107], s[20:21]
	v_fma_f64 v[142:143], v[132:133], s[18:19], -v[90:91]
	v_mul_f64 v[90:91], v[100:101], s[22:23]
	v_mul_f64 v[154:155], v[104:105], s[16:17]
	v_fma_f64 v[132:133], v[168:169], s[6:7], -v[98:99]
	v_mul_f64 v[98:99], v[112:113], s[22:23]
	v_fmac_f64_e32 v[102:103], s[22:23], v[104:105]
	v_fmac_f64_e32 v[138:139], s[0:1], v[110:111]
	v_fma_f64 v[150:151], v[112:113], s[20:21], -v[90:91]
	v_fmac_f64_e32 v[154:155], s[22:23], v[106:107]
	v_fma_f64 v[160:161], v[100:101], s[16:17], -v[98:99]
	v_add_f64 v[88:89], v[136:137], v[96:97]
	v_add_f64 v[128:129], v[126:127], v[102:103]
	;; [unrolled: 1-line block ×10, first 2 shown]
	v_add_f64 v[104:105], v[136:137], -v[96:97]
	v_add_f64 v[96:97], v[126:127], -v[102:103]
	;; [unrolled: 1-line block ×10, first 2 shown]
	ds_write_b128 v144, v[88:91]
	ds_write_b128 v144, v[128:131] offset:2288
	ds_write_b128 v144, v[120:123] offset:4576
	;; [unrolled: 1-line block ×9, first 2 shown]
	s_waitcnt lgkmcnt(0)
	s_barrier
	s_and_saveexec_b64 s[0:1], s[4:5]
	s_cbranch_execz .LBB0_13
; %bb.12:
	v_mov_b32_e32 v145, 0
	v_lshl_add_u64 v[148:149], s[14:15], 0, v[144:145]
	s_mov_b64 s[6:7], 0x5960
	v_add_co_u32_e32 v154, vcc, 0x5000, v148
	v_lshl_add_u64 v[132:133], v[148:149], 0, s[6:7]
	s_nop 0
	v_addc_co_u32_e32 v155, vcc, 0, v149, vcc
	s_movk_i32 s6, 0x7000
	v_add_co_u32_e32 v140, vcc, s6, v148
	s_mov_b32 s6, 0x8000
	s_nop 0
	v_addc_co_u32_e32 v141, vcc, 0, v149, vcc
	v_add_co_u32_e32 v162, vcc, s6, v148
	s_movk_i32 s6, 0x6000
	s_nop 0
	v_addc_co_u32_e32 v163, vcc, 0, v149, vcc
	global_load_dwordx4 v[92:95], v[132:133], off offset:1760
	s_nop 0
	global_load_dwordx4 v[132:135], v[132:133], off offset:3520
	v_add_co_u32_e32 v158, vcc, s6, v148
	global_load_dwordx4 v[136:139], v[140:141], off offset:1248
	s_nop 0
	global_load_dwordx4 v[140:143], v[140:141], off offset:3008
	s_nop 0
	global_load_dwordx4 v[150:153], v[162:163], off offset:672
	s_nop 0
	global_load_dwordx4 v[154:157], v[154:155], off offset:2400
	v_addc_co_u32_e32 v159, vcc, 0, v149, vcc
	global_load_dwordx4 v[158:161], v[158:159], off offset:3584
	s_nop 0
	global_load_dwordx4 v[162:165], v[162:163], off offset:2432
	s_mov_b32 s6, 0x9000
	v_add_co_u32_e32 v174, vcc, s6, v148
	s_mov_b32 s6, 0xa000
	s_nop 0
	v_addc_co_u32_e32 v175, vcc, 0, v149, vcc
	global_load_dwordx4 v[166:169], v[174:175], off offset:96
	global_load_dwordx4 v[170:173], v[174:175], off offset:1856
	v_add_co_u32_e32 v148, vcc, s6, v148
	global_load_dwordx4 v[174:177], v[174:175], off offset:3616
	s_nop 0
	v_addc_co_u32_e32 v149, vcc, 0, v149, vcc
	global_load_dwordx4 v[178:181], v[148:149], off offset:1280
	global_load_dwordx4 v[182:185], v[148:149], off offset:3040
	ds_read_b128 v[186:189], v144
	ds_read_b128 v[190:193], v144 offset:1760
	ds_read_b128 v[194:197], v144 offset:3520
	;; [unrolled: 1-line block ×7, first 2 shown]
	s_waitcnt vmcnt(12) lgkmcnt(6)
	v_mul_f64 v[148:149], v[192:193], v[94:95]
	v_mul_f64 v[226:227], v[190:191], v[94:95]
	s_waitcnt vmcnt(11) lgkmcnt(5)
	v_mul_f64 v[198:199], v[196:197], v[134:135]
	v_mul_f64 v[94:95], v[194:195], v[134:135]
	;; [unrolled: 3-line block ×4, first 2 shown]
	s_waitcnt vmcnt(7)
	v_mul_f64 v[234:235], v[188:189], v[156:157]
	v_mul_f64 v[142:143], v[186:187], v[156:157]
	v_fma_f64 v[224:225], v[190:191], v[92:93], -v[148:149]
	v_fmac_f64_e32 v[226:227], v[192:193], v[92:93]
	v_fma_f64 v[92:93], v[194:195], v[132:133], -v[198:199]
	v_fmac_f64_e32 v[94:95], v[196:197], v[132:133]
	s_waitcnt vmcnt(6)
	v_mul_f64 v[148:149], v[206:207], v[160:161]
	v_mul_f64 v[156:157], v[204:205], v[160:161]
	v_fma_f64 v[132:133], v[208:209], v[136:137], -v[228:229]
	v_fmac_f64_e32 v[134:135], v[210:211], v[136:137]
	v_fma_f64 v[136:137], v[212:213], v[140:141], -v[230:231]
	v_fmac_f64_e32 v[138:139], v[214:215], v[140:141]
	;; [unrolled: 2-line block ×3, first 2 shown]
	ds_write_b128 v144, v[224:227] offset:1760
	ds_write_b128 v144, v[92:95] offset:3520
	v_fma_f64 v[154:155], v[204:205], v[158:159], -v[148:149]
	v_fmac_f64_e32 v[156:157], v[206:207], v[158:159]
	ds_write_b128 v144, v[132:135] offset:7040
	ds_write_b128 v144, v[136:139] offset:8800
	ds_write_b128 v144, v[140:143]
	ds_write_b128 v144, v[154:157] offset:5280
	ds_read_b128 v[132:135], v144 offset:14080
	s_waitcnt lgkmcnt(8)
	v_mul_f64 v[232:233], v[218:219], v[152:153]
	v_mul_f64 v[94:95], v[216:217], v[152:153]
	v_fma_f64 v[92:93], v[216:217], v[150:151], -v[232:233]
	v_fmac_f64_e32 v[94:95], v[218:219], v[150:151]
	ds_write_b128 v144, v[92:95] offset:10560
	s_waitcnt vmcnt(5) lgkmcnt(8)
	v_mul_f64 v[92:93], v[222:223], v[164:165]
	v_mul_f64 v[94:95], v[220:221], v[164:165]
	v_fma_f64 v[92:93], v[220:221], v[162:163], -v[92:93]
	v_fmac_f64_e32 v[94:95], v[222:223], v[162:163]
	ds_write_b128 v144, v[92:95] offset:12320
	ds_read_b128 v[92:95], v144 offset:15840
	s_waitcnt vmcnt(4) lgkmcnt(3)
	v_mul_f64 v[136:137], v[134:135], v[168:169]
	v_mul_f64 v[138:139], v[132:133], v[168:169]
	v_fma_f64 v[136:137], v[132:133], v[166:167], -v[136:137]
	v_fmac_f64_e32 v[138:139], v[134:135], v[166:167]
	ds_write_b128 v144, v[136:139] offset:14080
	ds_read_b128 v[136:139], v144 offset:17600
	s_waitcnt vmcnt(3) lgkmcnt(2)
	v_mul_f64 v[132:133], v[94:95], v[172:173]
	v_mul_f64 v[134:135], v[92:93], v[172:173]
	v_fma_f64 v[132:133], v[92:93], v[170:171], -v[132:133]
	v_fmac_f64_e32 v[134:135], v[94:95], v[170:171]
	ds_read_b128 v[92:95], v144 offset:19360
	ds_write_b128 v144, v[132:135] offset:15840
	s_waitcnt vmcnt(2) lgkmcnt(2)
	v_mul_f64 v[132:133], v[138:139], v[176:177]
	v_mul_f64 v[134:135], v[136:137], v[176:177]
	v_fma_f64 v[132:133], v[136:137], v[174:175], -v[132:133]
	v_fmac_f64_e32 v[134:135], v[138:139], v[174:175]
	ds_write_b128 v144, v[132:135] offset:17600
	ds_read_b128 v[132:135], v144 offset:21120
	s_waitcnt vmcnt(1) lgkmcnt(3)
	v_mul_f64 v[136:137], v[94:95], v[180:181]
	v_mul_f64 v[138:139], v[92:93], v[180:181]
	v_fma_f64 v[136:137], v[92:93], v[178:179], -v[136:137]
	v_fmac_f64_e32 v[138:139], v[94:95], v[178:179]
	s_waitcnt vmcnt(0) lgkmcnt(0)
	v_mul_f64 v[92:93], v[134:135], v[184:185]
	v_mul_f64 v[94:95], v[132:133], v[184:185]
	v_fma_f64 v[92:93], v[132:133], v[182:183], -v[92:93]
	v_fmac_f64_e32 v[94:95], v[134:135], v[182:183]
	ds_write_b128 v144, v[136:139] offset:19360
	ds_write_b128 v144, v[92:95] offset:21120
.LBB0_13:
	s_or_b64 exec, exec, s[0:1]
	s_waitcnt lgkmcnt(0)
	s_barrier
	s_and_saveexec_b64 s[0:1], s[4:5]
	s_cbranch_execz .LBB0_15
; %bb.14:
	ds_read_b128 v[88:91], v144
	ds_read_b128 v[128:131], v144 offset:1760
	ds_read_b128 v[120:123], v144 offset:3520
	;; [unrolled: 1-line block ×12, first 2 shown]
.LBB0_15:
	s_or_b64 exec, exec, s[0:1]
	s_waitcnt lgkmcnt(11)
	v_add_f64 v[94:95], v[90:91], v[130:131]
	v_add_f64 v[92:93], v[88:89], v[128:129]
	s_waitcnt lgkmcnt(10)
	v_add_f64 v[94:95], v[94:95], v[122:123]
	v_add_f64 v[92:93], v[92:93], v[120:121]
	;; [unrolled: 3-line block ×10, first 2 shown]
	s_waitcnt lgkmcnt(1)
	v_add_f64 v[94:95], v[94:95], v[78:79]
	s_mov_b32 s30, 0x4267c47c
	v_add_f64 v[92:93], v[92:93], v[76:77]
	s_waitcnt lgkmcnt(0)
	v_add_f64 v[94:95], v[94:95], v[82:83]
	v_add_f64 v[136:137], v[130:131], v[82:83]
	v_add_f64 v[82:83], v[130:131], -v[82:83]
	s_mov_b32 s0, 0xe00740e9
	s_mov_b32 s31, 0xbfddbe06
	v_add_f64 v[92:93], v[92:93], v[80:81]
	v_add_f64 v[134:135], v[128:129], v[80:81]
	v_add_f64 v[80:81], v[128:129], -v[80:81]
	s_mov_b32 s1, 0x3fec55a7
	v_mul_f64 v[128:129], v[82:83], s[30:31]
	v_fma_f64 v[130:131], s[0:1], v[134:135], v[128:129]
	v_add_f64 v[142:143], v[88:89], v[130:131]
	v_mul_f64 v[130:131], v[80:81], s[30:31]
	s_mov_b32 s22, 0x42a4c3d2
	v_fma_f64 v[132:133], v[136:137], s[0:1], -v[130:131]
	s_mov_b32 s6, 0x1ea71119
	s_mov_b32 s23, 0xbfea55e2
	v_add_f64 v[148:149], v[90:91], v[132:133]
	s_mov_b32 s7, 0x3fe22d96
	v_mul_f64 v[132:133], v[82:83], s[22:23]
	v_fma_f64 v[138:139], s[6:7], v[134:135], v[132:133]
	v_add_f64 v[150:151], v[88:89], v[138:139]
	v_mul_f64 v[138:139], v[80:81], s[22:23]
	s_mov_b32 s18, 0x66966769
	v_fma_f64 v[140:141], v[136:137], s[6:7], -v[138:139]
	s_mov_b32 s19, 0xbfefc445
	s_mov_b32 s16, 0xebaa3ed8
	v_add_f64 v[156:157], v[90:91], v[140:141]
	v_mul_f64 v[140:141], v[82:83], s[18:19]
	s_mov_b32 s17, 0x3fbedb7d
	v_fma_f64 v[152:153], s[16:17], v[134:135], v[140:141]
	s_mov_b32 s28, 0x2ef20147
	v_add_f64 v[158:159], v[88:89], v[152:153]
	v_mul_f64 v[152:153], v[136:137], s[16:17]
	s_mov_b32 s25, 0x3fefc445
	s_mov_b32 s24, s18
	v_fma_f64 v[140:141], v[134:135], s[16:17], -v[140:141]
	s_mov_b32 s29, 0xbfedeba7
	s_mov_b32 s20, 0xb2365da1
	v_fma_f64 v[154:155], s[24:25], v[80:81], v[152:153]
	v_add_f64 v[162:163], v[88:89], v[140:141]
	v_fmac_f64_e32 v[152:153], s[18:19], v[80:81]
	v_mul_f64 v[140:141], v[82:83], s[28:29]
	s_mov_b32 s21, 0xbfd6b1d8
	v_add_f64 v[164:165], v[90:91], v[152:153]
	v_fma_f64 v[152:153], s[20:21], v[134:135], v[140:141]
	s_mov_b32 s38, 0x24c2f84
	v_add_f64 v[166:167], v[88:89], v[152:153]
	v_mul_f64 v[152:153], v[136:137], s[20:21]
	s_mov_b32 s37, 0x3fedeba7
	s_mov_b32 s36, s28
	v_fma_f64 v[140:141], v[134:135], s[20:21], -v[140:141]
	s_mov_b32 s39, 0xbfe5384d
	s_mov_b32 s26, 0xd0032e0c
	;; [unrolled: 1-line block ×3, first 2 shown]
	v_add_f64 v[160:161], v[90:91], v[154:155]
	v_fma_f64 v[154:155], s[36:37], v[80:81], v[152:153]
	v_add_f64 v[170:171], v[88:89], v[140:141]
	v_fmac_f64_e32 v[152:153], s[28:29], v[80:81]
	v_mul_f64 v[140:141], v[82:83], s[38:39]
	s_mov_b32 s27, 0xbfe7f3cc
	s_mov_b32 s43, 0xbfcea1e5
	;; [unrolled: 1-line block ×3, first 2 shown]
	v_add_f64 v[172:173], v[90:91], v[152:153]
	v_fma_f64 v[152:153], s[26:27], v[134:135], v[140:141]
	v_fma_f64 v[140:141], v[134:135], s[26:27], -v[140:141]
	v_mul_f64 v[82:83], v[82:83], s[42:43]
	s_mov_b32 s35, 0xbfef11f4
	v_add_f64 v[174:175], v[88:89], v[152:153]
	v_mul_f64 v[152:153], v[136:137], s[26:27]
	s_mov_b32 s41, 0x3fe5384d
	s_mov_b32 s40, s38
	v_add_f64 v[178:179], v[88:89], v[140:141]
	v_fma_f64 v[140:141], s[34:35], v[134:135], v[82:83]
	v_add_f64 v[168:169], v[90:91], v[154:155]
	v_fma_f64 v[154:155], s[40:41], v[80:81], v[152:153]
	v_fmac_f64_e32 v[152:153], s[38:39], v[80:81]
	v_add_f64 v[182:183], v[88:89], v[140:141]
	v_mul_f64 v[140:141], v[136:137], s[34:35]
	s_mov_b32 s45, 0x3fcea1e5
	s_mov_b32 s44, s42
	v_add_f64 v[176:177], v[90:91], v[154:155]
	v_add_f64 v[180:181], v[90:91], v[152:153]
	v_fma_f64 v[152:153], s[44:45], v[80:81], v[140:141]
	v_fmac_f64_e32 v[140:141], s[42:43], v[80:81]
	v_add_f64 v[154:155], v[122:123], v[78:79]
	v_add_f64 v[78:79], v[122:123], -v[78:79]
	v_add_f64 v[184:185], v[90:91], v[152:153]
	v_add_f64 v[80:81], v[90:91], v[140:141]
	;; [unrolled: 1-line block ×3, first 2 shown]
	v_mul_f64 v[140:141], v[78:79], s[22:23]
	v_add_f64 v[76:77], v[120:121], -v[76:77]
	v_fma_f64 v[120:121], s[6:7], v[152:153], v[140:141]
	v_add_f64 v[120:121], v[120:121], v[142:143]
	v_mul_f64 v[142:143], v[76:77], s[22:23]
	v_fma_f64 v[122:123], v[154:155], s[6:7], -v[142:143]
	v_add_f64 v[122:123], v[122:123], v[148:149]
	v_mul_f64 v[148:149], v[78:79], s[28:29]
	v_fma_f64 v[186:187], s[20:21], v[152:153], v[148:149]
	v_add_f64 v[186:187], v[186:187], v[150:151]
	v_mul_f64 v[150:151], v[76:77], s[28:29]
	v_fma_f64 v[188:189], v[154:155], s[20:21], -v[150:151]
	v_add_f64 v[188:189], v[188:189], v[156:157]
	v_mul_f64 v[156:157], v[78:79], s[42:43]
	v_fma_f64 v[190:191], s[34:35], v[152:153], v[156:157]
	v_add_f64 v[190:191], v[190:191], v[158:159]
	v_mul_f64 v[158:159], v[154:155], s[34:35]
	v_fma_f64 v[156:157], v[152:153], s[34:35], -v[156:157]
	v_fma_f64 v[192:193], s[44:45], v[76:77], v[158:159]
	v_add_f64 v[194:195], v[156:157], v[162:163]
	v_fmac_f64_e32 v[158:159], s[42:43], v[76:77]
	v_mul_f64 v[156:157], v[78:79], s[40:41]
	v_add_f64 v[196:197], v[158:159], v[164:165]
	v_fma_f64 v[158:159], s[26:27], v[152:153], v[156:157]
	v_add_f64 v[198:199], v[158:159], v[166:167]
	v_mul_f64 v[158:159], v[154:155], s[26:27]
	v_fma_f64 v[156:157], v[152:153], s[26:27], -v[156:157]
	v_add_f64 v[192:193], v[192:193], v[160:161]
	v_fma_f64 v[160:161], s[38:39], v[76:77], v[158:159]
	v_add_f64 v[170:171], v[156:157], v[170:171]
	v_fmac_f64_e32 v[158:159], s[40:41], v[76:77]
	v_mul_f64 v[156:157], v[78:79], s[24:25]
	s_mov_b32 s47, 0x3fddbe06
	s_mov_b32 s46, s30
	v_add_f64 v[172:173], v[158:159], v[172:173]
	v_fma_f64 v[158:159], s[16:17], v[152:153], v[156:157]
	v_fma_f64 v[156:157], v[152:153], s[16:17], -v[156:157]
	v_mul_f64 v[78:79], v[78:79], s[46:47]
	v_fma_f64 v[82:83], v[134:135], s[34:35], -v[82:83]
	v_add_f64 v[174:175], v[158:159], v[174:175]
	v_mul_f64 v[158:159], v[154:155], s[16:17]
	v_add_f64 v[178:179], v[156:157], v[178:179]
	v_fma_f64 v[156:157], s[0:1], v[152:153], v[78:79]
	v_add_f64 v[82:83], v[88:89], v[82:83]
	v_add_f64 v[168:169], v[160:161], v[168:169]
	v_fma_f64 v[160:161], s[18:19], v[76:77], v[158:159]
	v_fmac_f64_e32 v[158:159], s[24:25], v[76:77]
	v_add_f64 v[182:183], v[156:157], v[182:183]
	v_mul_f64 v[156:157], v[154:155], s[0:1]
	v_fma_f64 v[78:79], v[152:153], s[0:1], -v[78:79]
	v_add_f64 v[180:181], v[158:159], v[180:181]
	v_fma_f64 v[158:159], s[30:31], v[76:77], v[156:157]
	v_add_f64 v[78:79], v[78:79], v[82:83]
	v_fmac_f64_e32 v[156:157], s[46:47], v[76:77]
	v_add_f64 v[82:83], v[118:119], -v[86:87]
	v_add_f64 v[76:77], v[156:157], v[80:81]
	v_add_f64 v[164:165], v[116:117], v[84:85]
	v_add_f64 v[80:81], v[116:117], -v[84:85]
	v_mul_f64 v[156:157], v[82:83], s[18:19]
	v_add_f64 v[176:177], v[160:161], v[176:177]
	v_add_f64 v[184:185], v[158:159], v[184:185]
	;; [unrolled: 1-line block ×3, first 2 shown]
	v_fma_f64 v[84:85], s[16:17], v[164:165], v[156:157]
	v_mul_f64 v[158:159], v[80:81], s[18:19]
	v_mul_f64 v[160:161], v[82:83], s[42:43]
	v_add_f64 v[84:85], v[84:85], v[120:121]
	v_fma_f64 v[86:87], v[166:167], s[16:17], -v[158:159]
	v_fma_f64 v[116:117], s[34:35], v[164:165], v[160:161]
	v_mul_f64 v[162:163], v[80:81], s[42:43]
	v_mul_f64 v[120:121], v[82:83], s[36:37]
	v_add_f64 v[86:87], v[86:87], v[122:123]
	v_add_f64 v[116:117], v[116:117], v[186:187]
	v_fma_f64 v[118:119], v[166:167], s[34:35], -v[162:163]
	v_fma_f64 v[122:123], s[20:21], v[164:165], v[120:121]
	v_mul_f64 v[186:187], v[166:167], s[20:21]
	v_fma_f64 v[120:121], v[164:165], s[20:21], -v[120:121]
	v_add_f64 v[118:119], v[118:119], v[188:189]
	v_fma_f64 v[188:189], s[28:29], v[80:81], v[186:187]
	v_add_f64 v[120:121], v[120:121], v[194:195]
	v_fmac_f64_e32 v[186:187], s[36:37], v[80:81]
	v_mul_f64 v[194:195], v[166:167], s[0:1]
	v_add_f64 v[122:123], v[122:123], v[190:191]
	v_add_f64 v[186:187], v[186:187], v[196:197]
	v_mul_f64 v[190:191], v[82:83], s[46:47]
	v_fma_f64 v[196:197], s[30:31], v[80:81], v[194:195]
	v_add_f64 v[196:197], v[196:197], v[168:169]
	v_fma_f64 v[168:169], v[164:165], s[0:1], -v[190:191]
	v_add_f64 v[188:189], v[188:189], v[192:193]
	v_fma_f64 v[192:193], s[0:1], v[164:165], v[190:191]
	v_add_f64 v[190:191], v[168:169], v[170:171]
	v_mul_f64 v[168:169], v[82:83], s[22:23]
	v_fma_f64 v[170:171], s[6:7], v[164:165], v[168:169]
	v_fma_f64 v[168:169], v[164:165], s[6:7], -v[168:169]
	v_mul_f64 v[82:83], v[82:83], s[38:39]
	v_add_f64 v[192:193], v[192:193], v[198:199]
	v_fmac_f64_e32 v[194:195], s[46:47], v[80:81]
	v_add_f64 v[198:199], v[170:171], v[174:175]
	v_mul_f64 v[170:171], v[166:167], s[6:7]
	s_mov_b32 s49, 0x3fea55e2
	s_mov_b32 s48, s22
	v_add_f64 v[178:179], v[168:169], v[178:179]
	v_fma_f64 v[168:169], s[26:27], v[164:165], v[82:83]
	v_add_f64 v[194:195], v[194:195], v[172:173]
	v_fma_f64 v[172:173], s[48:49], v[80:81], v[170:171]
	v_fmac_f64_e32 v[170:171], s[22:23], v[80:81]
	v_add_f64 v[182:183], v[168:169], v[182:183]
	v_mul_f64 v[168:169], v[166:167], s[26:27]
	v_fma_f64 v[82:83], v[164:165], s[26:27], -v[82:83]
	v_add_f64 v[180:181], v[170:171], v[180:181]
	v_fma_f64 v[170:171], s[40:41], v[80:81], v[168:169]
	v_add_f64 v[78:79], v[82:83], v[78:79]
	v_add_f64 v[82:83], v[110:111], -v[126:127]
	v_add_f64 v[184:185], v[170:171], v[184:185]
	v_fmac_f64_e32 v[168:169], s[38:39], v[80:81]
	v_add_f64 v[170:171], v[108:109], v[124:125]
	v_add_f64 v[80:81], v[108:109], -v[124:125]
	v_mul_f64 v[124:125], v[82:83], s[28:29]
	v_add_f64 v[176:177], v[172:173], v[176:177]
	v_add_f64 v[172:173], v[110:111], v[126:127]
	v_fma_f64 v[108:109], s[20:21], v[170:171], v[124:125]
	v_mul_f64 v[126:127], v[80:81], s[28:29]
	v_add_f64 v[76:77], v[168:169], v[76:77]
	v_add_f64 v[84:85], v[108:109], v[84:85]
	v_fma_f64 v[108:109], v[172:173], s[20:21], -v[126:127]
	v_mul_f64 v[168:169], v[82:83], s[40:41]
	v_add_f64 v[86:87], v[108:109], v[86:87]
	v_fma_f64 v[108:109], s[26:27], v[170:171], v[168:169]
	v_mul_f64 v[174:175], v[80:81], s[40:41]
	v_add_f64 v[108:109], v[108:109], v[116:117]
	v_fma_f64 v[110:111], v[172:173], s[26:27], -v[174:175]
	v_mul_f64 v[116:117], v[82:83], s[46:47]
	v_add_f64 v[110:111], v[110:111], v[118:119]
	v_fma_f64 v[118:119], s[0:1], v[170:171], v[116:117]
	v_add_f64 v[118:119], v[118:119], v[122:123]
	v_mul_f64 v[122:123], v[172:173], s[0:1]
	v_fma_f64 v[204:205], s[30:31], v[80:81], v[122:123]
	v_fma_f64 v[116:117], v[170:171], s[0:1], -v[116:117]
	v_fmac_f64_e32 v[122:123], s[46:47], v[80:81]
	v_add_f64 v[116:117], v[116:117], v[120:121]
	v_add_f64 v[120:121], v[122:123], v[186:187]
	v_mul_f64 v[122:123], v[82:83], s[18:19]
	v_fma_f64 v[186:187], s[16:17], v[170:171], v[122:123]
	v_add_f64 v[192:193], v[186:187], v[192:193]
	v_mul_f64 v[186:187], v[172:173], s[16:17]
	v_add_f64 v[188:189], v[204:205], v[188:189]
	v_fma_f64 v[204:205], s[24:25], v[80:81], v[186:187]
	v_fma_f64 v[122:123], v[170:171], s[16:17], -v[122:123]
	v_fmac_f64_e32 v[186:187], s[18:19], v[80:81]
	v_add_f64 v[122:123], v[122:123], v[190:191]
	v_add_f64 v[190:191], v[186:187], v[194:195]
	v_mul_f64 v[186:187], v[82:83], s[44:45]
	v_fma_f64 v[194:195], s[34:35], v[170:171], v[186:187]
	v_add_f64 v[194:195], v[194:195], v[198:199]
	v_mul_f64 v[198:199], v[172:173], s[34:35]
	v_add_f64 v[196:197], v[204:205], v[196:197]
	v_fma_f64 v[204:205], s[42:43], v[80:81], v[198:199]
	v_add_f64 v[204:205], v[204:205], v[176:177]
	v_fma_f64 v[176:177], v[170:171], s[34:35], -v[186:187]
	v_mul_f64 v[82:83], v[82:83], s[48:49]
	v_add_f64 v[206:207], v[176:177], v[178:179]
	v_fma_f64 v[176:177], s[6:7], v[170:171], v[82:83]
	v_add_f64 v[208:209], v[176:177], v[182:183]
	v_mul_f64 v[176:177], v[172:173], s[6:7]
	v_fma_f64 v[82:83], v[170:171], s[6:7], -v[82:83]
	v_fma_f64 v[178:179], s[22:23], v[80:81], v[176:177]
	v_add_f64 v[78:79], v[82:83], v[78:79]
	v_fmac_f64_e32 v[176:177], s[48:49], v[80:81]
	v_add_f64 v[82:83], v[106:107], -v[114:115]
	v_fmac_f64_e32 v[198:199], s[44:45], v[80:81]
	v_add_f64 v[76:77], v[176:177], v[76:77]
	v_add_f64 v[182:183], v[104:105], v[112:113]
	v_add_f64 v[80:81], v[104:105], -v[112:113]
	v_mul_f64 v[176:177], v[82:83], s[38:39]
	v_add_f64 v[210:211], v[178:179], v[184:185]
	v_add_f64 v[184:185], v[106:107], v[114:115]
	v_fma_f64 v[104:105], s[26:27], v[182:183], v[176:177]
	v_mul_f64 v[178:179], v[80:81], s[38:39]
	v_add_f64 v[198:199], v[198:199], v[180:181]
	v_add_f64 v[84:85], v[104:105], v[84:85]
	v_fma_f64 v[104:105], v[184:185], s[26:27], -v[178:179]
	v_mul_f64 v[180:181], v[82:83], s[24:25]
	v_add_f64 v[86:87], v[104:105], v[86:87]
	v_fma_f64 v[104:105], s[16:17], v[182:183], v[180:181]
	v_mul_f64 v[186:187], v[80:81], s[24:25]
	v_add_f64 v[104:105], v[104:105], v[108:109]
	v_fma_f64 v[106:107], v[184:185], s[16:17], -v[186:187]
	v_mul_f64 v[108:109], v[82:83], s[22:23]
	v_add_f64 v[106:107], v[106:107], v[110:111]
	v_fma_f64 v[110:111], s[6:7], v[182:183], v[108:109]
	v_mul_f64 v[112:113], v[184:185], s[6:7]
	v_fma_f64 v[108:109], v[182:183], s[6:7], -v[108:109]
	v_fma_f64 v[114:115], s[48:49], v[80:81], v[112:113]
	v_add_f64 v[108:109], v[108:109], v[116:117]
	v_fmac_f64_e32 v[112:113], s[22:23], v[80:81]
	v_mul_f64 v[116:117], v[82:83], s[44:45]
	v_add_f64 v[110:111], v[110:111], v[118:119]
	v_add_f64 v[112:113], v[112:113], v[120:121]
	v_fma_f64 v[118:119], s[34:35], v[182:183], v[116:117]
	v_mul_f64 v[120:121], v[184:185], s[34:35]
	v_fma_f64 v[116:117], v[182:183], s[34:35], -v[116:117]
	v_add_f64 v[114:115], v[114:115], v[188:189]
	v_fma_f64 v[188:189], s[42:43], v[80:81], v[120:121]
	v_add_f64 v[116:117], v[116:117], v[122:123]
	v_mul_f64 v[122:123], v[82:83], s[46:47]
	v_add_f64 v[212:213], v[188:189], v[196:197]
	v_fma_f64 v[188:189], s[0:1], v[182:183], v[122:123]
	v_fmac_f64_e32 v[120:121], s[44:45], v[80:81]
	v_add_f64 v[214:215], v[188:189], v[194:195]
	v_mul_f64 v[188:189], v[184:185], s[0:1]
	v_add_f64 v[120:121], v[120:121], v[190:191]
	v_fma_f64 v[190:191], s[30:31], v[80:81], v[188:189]
	v_fma_f64 v[122:123], v[182:183], s[0:1], -v[122:123]
	v_fmac_f64_e32 v[188:189], s[46:47], v[80:81]
	v_mul_f64 v[82:83], v[82:83], s[28:29]
	v_add_f64 v[122:123], v[122:123], v[206:207]
	v_add_f64 v[206:207], v[188:189], v[198:199]
	v_fma_f64 v[188:189], s[20:21], v[182:183], v[82:83]
	v_add_f64 v[208:209], v[188:189], v[208:209]
	v_mul_f64 v[188:189], v[184:185], s[20:21]
	v_add_f64 v[222:223], v[98:99], -v[102:103]
	v_add_f64 v[118:119], v[118:119], v[192:193]
	v_add_f64 v[204:205], v[190:191], v[204:205]
	v_fma_f64 v[190:191], s[36:37], v[80:81], v[188:189]
	v_fmac_f64_e32 v[188:189], s[28:29], v[80:81]
	v_add_f64 v[194:195], v[96:97], v[100:101]
	v_mul_f64 v[192:193], v[222:223], s[46:47]
	v_add_f64 v[218:219], v[188:189], v[76:77]
	v_add_f64 v[220:221], v[96:97], -v[100:101]
	v_mul_f64 v[188:189], v[222:223], s[42:43]
	v_fma_f64 v[80:81], s[0:1], v[194:195], v[192:193]
	v_fma_f64 v[82:83], v[182:183], s[20:21], -v[82:83]
	v_add_f64 v[196:197], v[98:99], v[102:103]
	v_fma_f64 v[76:77], s[34:35], v[194:195], v[188:189]
	v_add_f64 v[80:81], v[80:81], v[104:105]
	v_mul_f64 v[198:199], v[220:221], s[46:47]
	v_mul_f64 v[96:97], v[222:223], s[38:39]
	;; [unrolled: 1-line block ×3, first 2 shown]
	v_add_f64 v[210:211], v[190:191], v[210:211]
	v_add_f64 v[216:217], v[82:83], v[78:79]
	;; [unrolled: 1-line block ×3, first 2 shown]
	v_mul_f64 v[190:191], v[220:221], s[42:43]
	v_fma_f64 v[82:83], v[196:197], s[0:1], -v[198:199]
	v_fma_f64 v[84:85], s[26:27], v[194:195], v[96:97]
	v_fma_f64 v[96:97], v[194:195], s[26:27], -v[96:97]
	v_fma_f64 v[100:101], s[6:7], v[194:195], v[104:105]
	v_fma_f64 v[104:105], v[194:195], s[6:7], -v[104:105]
	v_fma_f64 v[78:79], v[196:197], s[34:35], -v[190:191]
	v_add_f64 v[82:83], v[82:83], v[106:107]
	v_mul_f64 v[98:99], v[196:197], s[26:27]
	v_add_f64 v[96:97], v[96:97], v[108:109]
	v_mul_f64 v[106:107], v[196:197], s[6:7]
	;; [unrolled: 2-line block ×3, first 2 shown]
	v_mul_f64 v[116:117], v[222:223], s[24:25]
	v_add_f64 v[78:79], v[78:79], v[86:87]
	v_add_f64 v[84:85], v[84:85], v[110:111]
	v_fma_f64 v[86:87], s[40:41], v[220:221], v[98:99]
	v_fmac_f64_e32 v[98:99], s[38:39], v[220:221]
	v_add_f64 v[100:101], v[100:101], v[118:119]
	v_fma_f64 v[102:103], s[22:23], v[220:221], v[106:107]
	v_fmac_f64_e32 v[106:107], s[48:49], v[220:221]
	v_fma_f64 v[110:111], s[20:21], v[194:195], v[108:109]
	v_fma_f64 v[118:119], s[16:17], v[194:195], v[116:117]
	v_add_f64 v[98:99], v[98:99], v[112:113]
	v_add_f64 v[106:107], v[106:107], v[120:121]
	;; [unrolled: 1-line block ×3, first 2 shown]
	v_mul_f64 v[110:111], v[196:197], s[20:21]
	v_fma_f64 v[108:109], v[194:195], s[20:21], -v[108:109]
	v_add_f64 v[120:121], v[118:119], v[208:209]
	v_mul_f64 v[118:119], v[196:197], s[16:17]
	v_add_f64 v[86:87], v[86:87], v[114:115]
	v_fma_f64 v[114:115], s[36:37], v[220:221], v[110:111]
	v_add_f64 v[108:109], v[108:109], v[122:123]
	v_fmac_f64_e32 v[110:111], s[28:29], v[220:221]
	v_fma_f64 v[122:123], s[18:19], v[220:221], v[118:119]
	v_fma_f64 v[116:117], v[194:195], s[16:17], -v[116:117]
	v_fmac_f64_e32 v[118:119], s[24:25], v[220:221]
	v_add_f64 v[102:103], v[102:103], v[212:213]
	v_add_f64 v[114:115], v[114:115], v[204:205]
	;; [unrolled: 1-line block ×6, first 2 shown]
	s_barrier
	s_and_saveexec_b64 s[18:19], s[4:5]
	s_cbranch_execz .LBB0_17
; %bb.16:
	v_mul_f64 v[208:209], v[134:135], s[6:7]
	v_mul_f64 v[204:205], v[134:135], s[0:1]
	;; [unrolled: 1-line block ×6, first 2 shown]
	v_add_f64 v[132:133], v[208:209], -v[132:133]
	v_mul_f64 v[212:213], v[164:165], s[16:17]
	v_mul_f64 v[164:165], v[164:165], s[34:35]
	v_add_f64 v[148:149], v[152:153], -v[148:149]
	v_add_f64 v[132:133], v[88:89], v[132:133]
	v_mul_f64 v[210:211], v[154:155], s[6:7]
	v_mul_f64 v[154:155], v[154:155], s[20:21]
	;; [unrolled: 1-line block ×4, first 2 shown]
	v_add_f64 v[134:135], v[138:139], v[134:135]
	v_add_f64 v[160:161], v[164:165], -v[160:161]
	v_add_f64 v[132:133], v[148:149], v[132:133]
	v_mul_f64 v[220:221], v[182:183], s[26:27]
	v_mul_f64 v[182:183], v[182:183], s[16:17]
	v_add_f64 v[150:151], v[150:151], v[154:155]
	v_add_f64 v[134:135], v[90:91], v[134:135]
	v_add_f64 v[154:155], v[170:171], -v[168:169]
	v_add_f64 v[132:133], v[160:161], v[132:133]
	v_add_f64 v[130:131], v[130:131], v[206:207]
	v_mul_f64 v[214:215], v[166:167], s[16:17]
	v_add_f64 v[134:135], v[150:151], v[134:135]
	v_add_f64 v[150:151], v[182:183], -v[180:181]
	v_add_f64 v[132:133], v[154:155], v[132:133]
	v_add_f64 v[142:143], v[142:143], v[210:211]
	;; [unrolled: 1-line block ×3, first 2 shown]
	v_mul_f64 v[218:219], v[172:173], s[20:21]
	v_add_f64 v[132:133], v[150:151], v[132:133]
	v_add_f64 v[150:151], v[158:159], v[214:215]
	;; [unrolled: 1-line block ×3, first 2 shown]
	v_mul_f64 v[222:223], v[184:185], s[26:27]
	v_mul_f64 v[224:225], v[194:195], s[34:35]
	v_mul_f64 v[194:195], v[194:195], s[0:1]
	v_add_f64 v[126:127], v[126:127], v[218:219]
	v_add_f64 v[90:91], v[150:151], v[90:91]
	v_mul_f64 v[226:227], v[196:197], s[34:35]
	v_add_f64 v[138:139], v[194:195], -v[192:193]
	v_add_f64 v[148:149], v[178:179], v[222:223]
	v_add_f64 v[90:91], v[126:127], v[90:91]
	v_add_f64 v[128:129], v[204:205], -v[128:129]
	v_mul_f64 v[166:167], v[166:167], s[34:35]
	v_add_f64 v[132:133], v[138:139], v[132:133]
	v_add_f64 v[138:139], v[190:191], v[226:227]
	;; [unrolled: 1-line block ×3, first 2 shown]
	v_add_f64 v[136:137], v[136:137], -v[140:141]
	v_add_f64 v[88:89], v[88:89], v[128:129]
	v_mul_f64 v[172:173], v[172:173], s[26:27]
	v_add_f64 v[162:163], v[162:163], v[166:167]
	v_add_f64 v[90:91], v[138:139], v[90:91]
	v_add_f64 v[138:139], v[212:213], -v[156:157]
	v_add_f64 v[88:89], v[136:137], v[88:89]
	v_mul_f64 v[184:185], v[184:185], s[16:17]
	v_add_f64 v[172:173], v[174:175], v[172:173]
	v_add_f64 v[134:135], v[162:163], v[134:135]
	v_add_f64 v[124:125], v[216:217], -v[124:125]
	v_add_f64 v[88:89], v[138:139], v[88:89]
	v_mul_f64 v[196:197], v[196:197], s[0:1]
	v_add_f64 v[184:185], v[186:187], v[184:185]
	v_add_f64 v[134:135], v[172:173], v[134:135]
	v_add_f64 v[130:131], v[220:221], -v[176:177]
	v_add_f64 v[88:89], v[124:125], v[88:89]
	v_add_f64 v[196:197], v[198:199], v[196:197]
	;; [unrolled: 1-line block ×3, first 2 shown]
	v_add_f64 v[126:127], v[224:225], -v[188:189]
	v_add_f64 v[88:89], v[130:131], v[88:89]
	v_lshlrev_b32_e32 v124, 4, v202
	v_add_f64 v[134:135], v[196:197], v[134:135]
	v_add_f64 v[88:89], v[126:127], v[88:89]
	ds_write_b128 v124, v[92:95]
	ds_write_b128 v124, v[76:79] offset:16
	ds_write_b128 v124, v[80:83] offset:32
	;; [unrolled: 1-line block ×12, first 2 shown]
.LBB0_17:
	s_or_b64 exec, exec, s[18:19]
	s_waitcnt lgkmcnt(0)
	s_barrier
	s_and_saveexec_b64 s[0:1], s[2:3]
	s_cbranch_execz .LBB0_19
; %bb.18:
	ds_read_b128 v[92:95], v144
	ds_read_b128 v[76:79], v144 offset:2080
	ds_read_b128 v[80:83], v144 offset:4160
	;; [unrolled: 1-line block ×10, first 2 shown]
.LBB0_19:
	s_or_b64 exec, exec, s[0:1]
	s_waitcnt lgkmcnt(0)
	s_barrier
	s_and_saveexec_b64 s[0:1], s[2:3]
	s_cbranch_execz .LBB0_21
; %bb.20:
	v_mul_f64 v[88:89], v[38:39], v[114:115]
	v_mul_f64 v[90:91], v[34:35], v[122:123]
	;; [unrolled: 1-line block ×4, first 2 shown]
	v_fmac_f64_e32 v[88:89], v[36:37], v[112:113]
	v_fmac_f64_e32 v[90:91], v[32:33], v[120:121]
	v_fma_f64 v[36:37], v[36:37], v[114:115], -v[38:39]
	v_fma_f64 v[38:39], v[32:33], v[122:123], -v[34:35]
	v_mul_f64 v[32:33], v[14:15], v[102:103]
	v_mul_f64 v[14:15], v[14:15], v[100:101]
	v_fmac_f64_e32 v[32:33], v[12:13], v[100:101]
	v_mul_f64 v[34:35], v[30:31], v[118:119]
	v_fma_f64 v[102:103], v[12:13], v[102:103], -v[14:15]
	v_mul_f64 v[12:13], v[30:31], v[116:117]
	v_mul_f64 v[100:101], v[10:11], v[86:87]
	;; [unrolled: 1-line block ×3, first 2 shown]
	v_fmac_f64_e32 v[34:35], v[28:29], v[116:117]
	v_fma_f64 v[30:31], v[28:29], v[118:119], -v[12:13]
	v_fmac_f64_e32 v[100:101], v[8:9], v[84:85]
	v_mul_f64 v[28:29], v[22:23], v[110:111]
	v_fma_f64 v[86:87], v[8:9], v[86:87], -v[10:11]
	v_mul_f64 v[8:9], v[22:23], v[108:109]
	v_mul_f64 v[84:85], v[6:7], v[82:83]
	;; [unrolled: 1-line block ×3, first 2 shown]
	v_fmac_f64_e32 v[28:29], v[20:21], v[108:109]
	v_fma_f64 v[22:23], v[20:21], v[110:111], -v[8:9]
	v_fmac_f64_e32 v[84:85], v[4:5], v[80:81]
	v_mul_f64 v[20:21], v[26:27], v[106:107]
	v_fma_f64 v[82:83], v[4:5], v[82:83], -v[6:7]
	v_mul_f64 v[4:5], v[26:27], v[104:105]
	v_fmac_f64_e32 v[20:21], v[24:25], v[104:105]
	v_fma_f64 v[26:27], v[24:25], v[106:107], -v[4:5]
	v_mul_f64 v[80:81], v[2:3], v[78:79]
	v_mul_f64 v[24:25], v[18:19], v[98:99]
	;; [unrolled: 1-line block ×3, first 2 shown]
	v_fmac_f64_e32 v[80:81], v[0:1], v[76:77]
	v_fmac_f64_e32 v[24:25], v[16:17], v[96:97]
	s_mov_b32 s28, 0xfd768dbf
	v_fma_f64 v[76:77], v[0:1], v[78:79], -v[2:3]
	v_mul_f64 v[0:1], v[18:19], v[96:97]
	s_mov_b32 s30, 0xf8bb580b
	v_add_f64 v[122:123], v[80:81], -v[24:25]
	s_mov_b32 s29, 0xbfd207e7
	v_fma_f64 v[16:17], v[16:17], v[98:99], -v[0:1]
	s_mov_b32 s26, 0x9bcd5057
	s_mov_b32 s24, 0xbb3a28a1
	v_add_f64 v[110:111], v[84:85], -v[20:21]
	s_mov_b32 s31, 0x3fe14ced
	s_mov_b32 s22, 0x8764f0ba
	v_mul_f64 v[6:7], v[122:123], s[28:29]
	v_add_f64 v[18:19], v[76:77], v[16:17]
	s_mov_b32 s27, 0xbfeeb42a
	v_add_f64 v[116:117], v[100:101], -v[28:29]
	s_mov_b32 s25, 0xbfe82f19
	s_mov_b32 s20, 0x7f775887
	v_mul_f64 v[10:11], v[110:111], s[30:31]
	v_add_f64 v[104:105], v[82:83], v[26:27]
	s_mov_b32 s23, 0x3feaeb8c
	v_fma_f64 v[0:1], s[26:27], v[18:19], v[6:7]
	s_mov_b32 s6, 0x43842ef
	v_add_f64 v[120:121], v[32:33], -v[34:35]
	s_mov_b32 s19, 0x3fed1bb4
	s_mov_b32 s18, 0x8eee2c13
	s_mov_b32 s16, 0xd9c712b6
	v_mul_f64 v[14:15], v[116:117], s[24:25]
	v_add_f64 v[108:109], v[86:87], v[22:23]
	s_mov_b32 s21, 0xbfe4f49e
	v_fma_f64 v[4:5], s[22:23], v[104:105], v[10:11]
	v_add_f64 v[0:1], v[94:95], v[0:1]
	v_add_f64 v[134:135], v[76:77], -v[16:17]
	v_add_f64 v[124:125], v[88:89], -v[90:91]
	s_mov_b32 s7, 0xbfefac9e
	s_mov_b32 s2, 0x640f44db
	v_mul_f64 v[138:139], v[120:121], s[18:19]
	v_add_f64 v[114:115], v[102:103], v[30:31]
	s_mov_b32 s17, 0x3fda9628
	v_fma_f64 v[8:9], s[20:21], v[108:109], v[14:15]
	v_add_f64 v[0:1], v[4:5], v[0:1]
	v_add_f64 v[132:133], v[82:83], -v[26:27]
	v_add_f64 v[118:119], v[80:81], v[24:25]
	v_mul_f64 v[152:153], v[134:135], s[28:29]
	v_mul_f64 v[136:137], v[124:125], s[6:7]
	v_add_f64 v[112:113], v[36:37], v[38:39]
	s_mov_b32 s3, 0xbfc2375f
	v_fma_f64 v[12:13], s[16:17], v[114:115], v[138:139]
	v_add_f64 v[0:1], v[8:9], v[0:1]
	v_add_f64 v[130:131], v[86:87], -v[22:23]
	v_add_f64 v[106:107], v[84:85], v[20:21]
	v_mul_f64 v[148:149], v[132:133], s[30:31]
	v_fma_f64 v[154:155], v[118:119], s[26:27], -v[152:153]
	v_fma_f64 v[126:127], s[2:3], v[112:113], v[136:137]
	v_add_f64 v[0:1], v[12:13], v[0:1]
	v_add_f64 v[128:129], v[102:103], -v[30:31]
	v_add_f64 v[98:99], v[100:101], v[28:29]
	v_mul_f64 v[140:141], v[130:131], s[24:25]
	v_fma_f64 v[150:151], v[106:107], s[22:23], -v[148:149]
	v_add_f64 v[154:155], v[92:93], v[154:155]
	v_fma_f64 v[6:7], v[18:19], s[26:27], -v[6:7]
	v_add_f64 v[2:3], v[126:127], v[0:1]
	v_add_f64 v[126:127], v[36:37], -v[38:39]
	v_add_f64 v[96:97], v[32:33], v[34:35]
	v_mul_f64 v[8:9], v[128:129], s[18:19]
	v_fma_f64 v[142:143], v[98:99], s[20:21], -v[140:141]
	v_add_f64 v[150:151], v[150:151], v[154:155]
	v_fma_f64 v[10:11], v[104:105], s[22:23], -v[10:11]
	v_add_f64 v[6:7], v[94:95], v[6:7]
	v_fmac_f64_e32 v[152:153], s[26:27], v[118:119]
	v_add_f64 v[78:79], v[88:89], v[90:91]
	v_mul_f64 v[4:5], v[126:127], s[6:7]
	v_fma_f64 v[12:13], v[96:97], s[16:17], -v[8:9]
	v_add_f64 v[142:143], v[142:143], v[150:151]
	v_add_f64 v[6:7], v[10:11], v[6:7]
	v_fmac_f64_e32 v[148:149], s[22:23], v[106:107]
	v_add_f64 v[10:11], v[92:93], v[152:153]
	v_fma_f64 v[0:1], v[78:79], s[2:3], -v[4:5]
	v_add_f64 v[12:13], v[12:13], v[142:143]
	v_fma_f64 v[14:15], v[108:109], s[20:21], -v[14:15]
	v_fmac_f64_e32 v[140:141], s[20:21], v[98:99]
	v_add_f64 v[10:11], v[148:149], v[10:11]
	s_mov_b32 s37, 0x3fefac9e
	s_mov_b32 s36, s6
	v_mul_f64 v[148:149], v[122:123], s[24:25]
	v_add_f64 v[0:1], v[0:1], v[12:13]
	v_fma_f64 v[12:13], v[112:113], s[2:3], -v[136:137]
	v_fma_f64 v[136:137], v[114:115], s[16:17], -v[138:139]
	v_add_f64 v[6:7], v[14:15], v[6:7]
	v_add_f64 v[10:11], v[140:141], v[10:11]
	s_mov_b32 s35, 0xbfe14ced
	s_mov_b32 s34, s30
	v_mul_f64 v[140:141], v[110:111], s[36:37]
	v_fma_f64 v[150:151], s[20:21], v[18:19], v[148:149]
	v_fma_f64 v[148:149], v[18:19], s[20:21], -v[148:149]
	v_add_f64 v[6:7], v[136:137], v[6:7]
	v_mul_f64 v[136:137], v[116:117], s[34:35]
	v_fma_f64 v[142:143], s[2:3], v[104:105], v[140:141]
	v_fma_f64 v[140:141], v[104:105], s[2:3], -v[140:141]
	v_add_f64 v[148:149], v[94:95], v[148:149]
	v_fmac_f64_e32 v[8:9], s[16:17], v[96:97]
	v_mul_f64 v[14:15], v[120:121], s[28:29]
	v_fma_f64 v[138:139], s[22:23], v[108:109], v[136:137]
	v_fma_f64 v[136:137], v[108:109], s[22:23], -v[136:137]
	v_add_f64 v[140:141], v[140:141], v[148:149]
	v_add_f64 v[6:7], v[12:13], v[6:7]
	v_fmac_f64_e32 v[4:5], s[2:3], v[78:79]
	v_add_f64 v[8:9], v[8:9], v[10:11]
	v_mul_f64 v[12:13], v[124:125], s[18:19]
	v_fma_f64 v[10:11], s[26:27], v[114:115], v[14:15]
	v_mul_f64 v[160:161], v[134:135], s[24:25]
	v_fma_f64 v[14:15], v[114:115], s[26:27], -v[14:15]
	v_add_f64 v[136:137], v[136:137], v[140:141]
	v_add_f64 v[4:5], v[4:5], v[8:9]
	v_fma_f64 v[8:9], s[16:17], v[112:113], v[12:13]
	v_add_f64 v[150:151], v[94:95], v[150:151]
	v_mul_f64 v[156:157], v[132:133], s[36:37]
	v_fma_f64 v[162:163], v[118:119], s[20:21], -v[160:161]
	v_fma_f64 v[12:13], v[112:113], s[16:17], -v[12:13]
	v_add_f64 v[14:15], v[14:15], v[136:137]
	v_fmac_f64_e32 v[160:161], s[20:21], v[118:119]
	v_add_f64 v[142:143], v[142:143], v[150:151]
	v_mul_f64 v[152:153], v[130:131], s[34:35]
	v_fma_f64 v[158:159], v[106:107], s[2:3], -v[156:157]
	v_add_f64 v[162:163], v[92:93], v[162:163]
	v_add_f64 v[14:15], v[12:13], v[14:15]
	v_fmac_f64_e32 v[156:157], s[2:3], v[106:107]
	v_add_f64 v[12:13], v[92:93], v[160:161]
	v_add_f64 v[138:139], v[138:139], v[142:143]
	v_mul_f64 v[142:143], v[128:129], s[28:29]
	v_fma_f64 v[154:155], v[98:99], s[22:23], -v[152:153]
	v_add_f64 v[158:159], v[158:159], v[162:163]
	v_fmac_f64_e32 v[152:153], s[22:23], v[98:99]
	v_add_f64 v[12:13], v[156:157], v[12:13]
	s_mov_b32 s39, 0x3fd207e7
	s_mov_b32 s38, s28
	v_mul_f64 v[156:157], v[122:123], s[6:7]
	v_add_f64 v[10:11], v[10:11], v[138:139]
	v_mul_f64 v[138:139], v[126:127], s[18:19]
	v_fma_f64 v[150:151], v[96:97], s[26:27], -v[142:143]
	v_add_f64 v[154:155], v[154:155], v[158:159]
	v_add_f64 v[12:13], v[152:153], v[12:13]
	v_mul_f64 v[152:153], v[110:111], s[38:39]
	v_fma_f64 v[158:159], s[2:3], v[18:19], v[156:157]
	v_fma_f64 v[156:157], v[18:19], s[2:3], -v[156:157]
	v_add_f64 v[10:11], v[8:9], v[10:11]
	v_fma_f64 v[8:9], v[78:79], s[16:17], -v[138:139]
	v_add_f64 v[150:151], v[150:151], v[154:155]
	v_fmac_f64_e32 v[142:143], s[26:27], v[96:97]
	v_mul_f64 v[148:149], v[116:117], s[18:19]
	v_fma_f64 v[154:155], s[26:27], v[104:105], v[152:153]
	v_fma_f64 v[152:153], v[104:105], s[26:27], -v[152:153]
	v_add_f64 v[156:157], v[94:95], v[156:157]
	v_add_f64 v[8:9], v[8:9], v[150:151]
	v_fmac_f64_e32 v[138:139], s[16:17], v[78:79]
	v_add_f64 v[12:13], v[142:143], v[12:13]
	v_mul_f64 v[142:143], v[120:121], s[34:35]
	v_fma_f64 v[150:151], s[16:17], v[108:109], v[148:149]
	v_fma_f64 v[148:149], v[108:109], s[16:17], -v[148:149]
	v_add_f64 v[152:153], v[152:153], v[156:157]
	v_add_f64 v[12:13], v[138:139], v[12:13]
	v_mul_f64 v[140:141], v[124:125], s[24:25]
	v_fma_f64 v[138:139], s[22:23], v[114:115], v[142:143]
	v_mul_f64 v[168:169], v[134:135], s[6:7]
	v_fma_f64 v[142:143], v[114:115], s[22:23], -v[142:143]
	v_add_f64 v[148:149], v[148:149], v[152:153]
	v_fma_f64 v[136:137], s[20:21], v[112:113], v[140:141]
	v_add_f64 v[158:159], v[94:95], v[158:159]
	v_mul_f64 v[164:165], v[132:133], s[38:39]
	v_fma_f64 v[170:171], v[118:119], s[2:3], -v[168:169]
	v_fma_f64 v[140:141], v[112:113], s[20:21], -v[140:141]
	v_add_f64 v[142:143], v[142:143], v[148:149]
	v_fmac_f64_e32 v[168:169], s[2:3], v[118:119]
	v_add_f64 v[154:155], v[154:155], v[158:159]
	v_mul_f64 v[160:161], v[130:131], s[18:19]
	v_fma_f64 v[166:167], v[106:107], s[26:27], -v[164:165]
	v_add_f64 v[170:171], v[92:93], v[170:171]
	v_add_f64 v[142:143], v[140:141], v[142:143]
	v_fmac_f64_e32 v[164:165], s[26:27], v[106:107]
	v_add_f64 v[140:141], v[92:93], v[168:169]
	s_mov_b32 s19, 0xbfed1bb4
	v_add_f64 v[150:151], v[150:151], v[154:155]
	v_mul_f64 v[154:155], v[128:129], s[34:35]
	v_fma_f64 v[162:163], v[98:99], s[16:17], -v[160:161]
	v_add_f64 v[166:167], v[166:167], v[170:171]
	v_fmac_f64_e32 v[160:161], s[16:17], v[98:99]
	v_add_f64 v[140:141], v[164:165], v[140:141]
	v_mul_f64 v[164:165], v[122:123], s[18:19]
	v_add_f64 v[138:139], v[138:139], v[150:151]
	v_mul_f64 v[150:151], v[126:127], s[24:25]
	v_fma_f64 v[158:159], v[96:97], s[22:23], -v[154:155]
	v_add_f64 v[162:163], v[162:163], v[166:167]
	v_add_f64 v[140:141], v[160:161], v[140:141]
	v_mul_f64 v[160:161], v[110:111], s[24:25]
	v_fma_f64 v[166:167], s[16:17], v[18:19], v[164:165]
	v_fma_f64 v[164:165], v[18:19], s[16:17], -v[164:165]
	v_add_f64 v[138:139], v[136:137], v[138:139]
	v_fma_f64 v[136:137], v[78:79], s[20:21], -v[150:151]
	v_add_f64 v[158:159], v[158:159], v[162:163]
	v_fmac_f64_e32 v[154:155], s[22:23], v[96:97]
	v_mul_f64 v[156:157], v[116:117], s[38:39]
	v_fma_f64 v[162:163], s[20:21], v[104:105], v[160:161]
	v_fma_f64 v[160:161], v[104:105], s[20:21], -v[160:161]
	v_add_f64 v[164:165], v[94:95], v[164:165]
	v_add_f64 v[136:137], v[136:137], v[158:159]
	v_fmac_f64_e32 v[150:151], s[20:21], v[78:79]
	v_add_f64 v[140:141], v[154:155], v[140:141]
	v_mul_f64 v[154:155], v[120:121], s[36:37]
	v_fma_f64 v[158:159], s[26:27], v[108:109], v[156:157]
	v_fma_f64 v[156:157], v[108:109], s[26:27], -v[156:157]
	v_add_f64 v[160:161], v[160:161], v[164:165]
	v_add_f64 v[140:141], v[150:151], v[140:141]
	v_mul_f64 v[152:153], v[124:125], s[30:31]
	v_fma_f64 v[150:151], s[2:3], v[114:115], v[154:155]
	v_mul_f64 v[176:177], v[134:135], s[18:19]
	v_fma_f64 v[154:155], v[114:115], s[2:3], -v[154:155]
	v_add_f64 v[156:157], v[156:157], v[160:161]
	v_fma_f64 v[148:149], s[22:23], v[112:113], v[152:153]
	v_add_f64 v[166:167], v[94:95], v[166:167]
	v_mul_f64 v[172:173], v[132:133], s[24:25]
	v_fma_f64 v[178:179], v[118:119], s[16:17], -v[176:177]
	v_fma_f64 v[152:153], v[112:113], s[22:23], -v[152:153]
	v_add_f64 v[154:155], v[154:155], v[156:157]
	v_fmac_f64_e32 v[176:177], s[16:17], v[118:119]
	v_add_f64 v[162:163], v[162:163], v[166:167]
	v_mul_f64 v[168:169], v[130:131], s[38:39]
	v_fma_f64 v[174:175], v[106:107], s[20:21], -v[172:173]
	v_add_f64 v[154:155], v[152:153], v[154:155]
	v_fmac_f64_e32 v[172:173], s[20:21], v[106:107]
	v_add_f64 v[152:153], v[92:93], v[176:177]
	v_add_f64 v[158:159], v[158:159], v[162:163]
	v_mul_f64 v[162:163], v[128:129], s[36:37]
	v_fma_f64 v[170:171], v[98:99], s[26:27], -v[168:169]
	v_fmac_f64_e32 v[168:169], s[26:27], v[98:99]
	v_add_f64 v[152:153], v[172:173], v[152:153]
	v_mul_f64 v[164:165], v[122:123], s[34:35]
	v_add_f64 v[150:151], v[150:151], v[158:159]
	v_mul_f64 v[158:159], v[126:127], s[30:31]
	v_fma_f64 v[166:167], v[96:97], s[2:3], -v[162:163]
	v_add_f64 v[178:179], v[92:93], v[178:179]
	v_fmac_f64_e32 v[162:163], s[2:3], v[96:97]
	v_add_f64 v[152:153], v[168:169], v[152:153]
	v_mul_f64 v[110:111], v[110:111], s[18:19]
	v_fma_f64 v[122:123], s[22:23], v[18:19], v[164:165]
	v_fma_f64 v[18:19], v[18:19], s[22:23], -v[164:165]
	v_add_f64 v[150:151], v[148:149], v[150:151]
	v_fma_f64 v[148:149], v[78:79], s[22:23], -v[158:159]
	v_add_f64 v[174:175], v[174:175], v[178:179]
	v_fmac_f64_e32 v[158:159], s[22:23], v[78:79]
	v_add_f64 v[152:153], v[162:163], v[152:153]
	v_mul_f64 v[116:117], v[116:117], s[6:7]
	v_fma_f64 v[162:163], s[16:17], v[104:105], v[110:111]
	v_fma_f64 v[104:105], v[104:105], s[16:17], -v[110:111]
	v_add_f64 v[18:19], v[94:95], v[18:19]
	v_add_f64 v[170:171], v[170:171], v[174:175]
	;; [unrolled: 1-line block ×3, first 2 shown]
	v_mul_f64 v[158:159], v[120:121], s[24:25]
	v_fma_f64 v[160:161], s[2:3], v[108:109], v[116:117]
	v_fma_f64 v[108:109], v[108:109], s[2:3], -v[116:117]
	v_add_f64 v[18:19], v[104:105], v[18:19]
	v_add_f64 v[166:167], v[166:167], v[170:171]
	v_mul_f64 v[124:125], v[124:125], s[28:29]
	v_fma_f64 v[120:121], s[20:21], v[114:115], v[158:159]
	v_add_f64 v[122:123], v[94:95], v[122:123]
	v_mul_f64 v[134:135], v[134:135], s[34:35]
	v_fma_f64 v[114:115], v[114:115], s[20:21], -v[158:159]
	v_add_f64 v[18:19], v[108:109], v[18:19]
	v_add_f64 v[148:149], v[148:149], v[166:167]
	v_fma_f64 v[156:157], s[26:27], v[112:113], v[124:125]
	v_add_f64 v[122:123], v[162:163], v[122:123]
	v_mul_f64 v[132:133], v[132:133], s[18:19]
	v_fma_f64 v[166:167], v[118:119], s[22:23], -v[134:135]
	v_fma_f64 v[112:113], v[112:113], s[26:27], -v[124:125]
	v_add_f64 v[18:19], v[114:115], v[18:19]
	v_fmac_f64_e32 v[134:135], s[22:23], v[118:119]
	v_add_f64 v[122:123], v[160:161], v[122:123]
	v_mul_f64 v[130:131], v[130:131], s[6:7]
	v_fma_f64 v[162:163], v[106:107], s[16:17], -v[132:133]
	v_add_f64 v[108:109], v[112:113], v[18:19]
	v_fmac_f64_e32 v[132:133], s[16:17], v[106:107]
	v_add_f64 v[18:19], v[92:93], v[134:135]
	v_add_f64 v[120:121], v[120:121], v[122:123]
	v_mul_f64 v[128:129], v[128:129], s[24:25]
	v_fma_f64 v[160:161], v[98:99], s[2:3], -v[130:131]
	v_fmac_f64_e32 v[130:131], s[2:3], v[98:99]
	v_add_f64 v[18:19], v[132:133], v[18:19]
	v_add_f64 v[122:123], v[156:157], v[120:121]
	v_mul_f64 v[126:127], v[126:127], s[28:29]
	v_fma_f64 v[156:157], v[96:97], s[20:21], -v[128:129]
	v_fmac_f64_e32 v[128:129], s[20:21], v[96:97]
	v_add_f64 v[18:19], v[130:131], v[18:19]
	v_fma_f64 v[120:121], v[78:79], s[26:27], -v[126:127]
	v_fmac_f64_e32 v[126:127], s[26:27], v[78:79]
	v_add_f64 v[18:19], v[128:129], v[18:19]
	v_add_f64 v[106:107], v[126:127], v[18:19]
	;; [unrolled: 1-line block ×24, first 2 shown]
	v_mul_u32_u24_e32 v20, 0x8f, v200
	v_add_f64 v[156:157], v[156:157], v[160:161]
	v_add_f64 v[16:17], v[16:17], v[24:25]
	v_add_lshl_u32 v20, v20, v201, 4
	v_add_f64 v[120:121], v[120:121], v[156:157]
	ds_write_b128 v20, v[16:19]
	ds_write_b128 v20, v[106:109] offset:208
	ds_write_b128 v20, v[152:155] offset:416
	ds_write_b128 v20, v[140:143] offset:624
	ds_write_b128 v20, v[12:15] offset:832
	ds_write_b128 v20, v[4:7] offset:1040
	ds_write_b128 v20, v[0:3] offset:1248
	ds_write_b128 v20, v[8:11] offset:1456
	ds_write_b128 v20, v[136:139] offset:1664
	ds_write_b128 v20, v[148:151] offset:1872
	ds_write_b128 v20, v[120:123] offset:2080
.LBB0_21:
	s_or_b64 exec, exec, s[0:1]
	s_waitcnt lgkmcnt(0)
	s_barrier
	ds_read_b128 v[0:3], v144
	ds_read_b128 v[6:9], v144 offset:2288
	ds_read_b128 v[10:13], v144 offset:4576
	;; [unrolled: 1-line block ×9, first 2 shown]
	s_waitcnt lgkmcnt(8)
	v_mul_f64 v[4:5], v[54:55], v[8:9]
	v_fmac_f64_e32 v[4:5], v[52:53], v[6:7]
	v_mul_f64 v[6:7], v[54:55], v[6:7]
	v_fma_f64 v[6:7], v[52:53], v[8:9], -v[6:7]
	s_waitcnt lgkmcnt(7)
	v_mul_f64 v[8:9], v[50:51], v[12:13]
	v_fmac_f64_e32 v[8:9], v[48:49], v[10:11]
	v_mul_f64 v[10:11], v[50:51], v[10:11]
	v_fma_f64 v[10:11], v[48:49], v[12:13], -v[10:11]
	;; [unrolled: 5-line block ×8, first 2 shown]
	v_add_f64 v[42:43], v[16:17], v[24:25]
	s_mov_b32 s18, 0x134454ff
	v_fma_f64 v[42:43], -0.5, v[42:43], v[0:1]
	v_add_f64 v[44:45], v[10:11], -v[34:35]
	s_mov_b32 s19, 0xbfee6f0e
	s_mov_b32 s16, 0x4755a5e
	;; [unrolled: 1-line block ×4, first 2 shown]
	v_fma_f64 v[46:47], s[18:19], v[44:45], v[42:43]
	v_add_f64 v[48:49], v[18:19], -v[26:27]
	s_mov_b32 s17, 0xbfe2cf23
	v_add_f64 v[50:51], v[8:9], -v[16:17]
	v_add_f64 v[52:53], v[32:33], -v[24:25]
	s_mov_b32 s6, 0x372fe950
	v_fmac_f64_e32 v[42:43], s[2:3], v[44:45]
	s_mov_b32 s1, 0x3fe2cf23
	s_mov_b32 s0, s16
	v_fmac_f64_e32 v[46:47], s[16:17], v[48:49]
	v_add_f64 v[50:51], v[50:51], v[52:53]
	s_mov_b32 s7, 0x3fd3c6ef
	v_fmac_f64_e32 v[42:43], s[0:1], v[48:49]
	v_fmac_f64_e32 v[46:47], s[6:7], v[50:51]
	;; [unrolled: 1-line block ×3, first 2 shown]
	v_add_f64 v[50:51], v[8:9], v[32:33]
	v_add_f64 v[40:41], v[0:1], v[8:9]
	v_fmac_f64_e32 v[0:1], -0.5, v[50:51]
	v_add_f64 v[40:41], v[40:41], v[16:17]
	v_fma_f64 v[50:51], s[2:3], v[48:49], v[0:1]
	v_add_f64 v[52:53], v[16:17], -v[8:9]
	v_add_f64 v[54:55], v[24:25], -v[32:33]
	v_fmac_f64_e32 v[0:1], s[18:19], v[48:49]
	v_add_f64 v[48:49], v[18:19], v[26:27]
	v_add_f64 v[40:41], v[40:41], v[24:25]
	v_fmac_f64_e32 v[50:51], s[16:17], v[44:45]
	v_add_f64 v[52:53], v[52:53], v[54:55]
	v_fmac_f64_e32 v[0:1], s[0:1], v[44:45]
	v_fma_f64 v[48:49], -0.5, v[48:49], v[2:3]
	v_add_f64 v[8:9], v[8:9], -v[32:33]
	v_add_f64 v[40:41], v[40:41], v[32:33]
	v_fmac_f64_e32 v[50:51], s[6:7], v[52:53]
	v_fmac_f64_e32 v[0:1], s[6:7], v[52:53]
	v_fma_f64 v[52:53], s[2:3], v[8:9], v[48:49]
	v_add_f64 v[16:17], v[16:17], -v[24:25]
	v_add_f64 v[24:25], v[10:11], -v[18:19]
	;; [unrolled: 1-line block ×3, first 2 shown]
	v_fmac_f64_e32 v[48:49], s[18:19], v[8:9]
	v_fmac_f64_e32 v[52:53], s[0:1], v[16:17]
	v_add_f64 v[24:25], v[24:25], v[32:33]
	v_fmac_f64_e32 v[48:49], s[16:17], v[16:17]
	v_fmac_f64_e32 v[52:53], s[6:7], v[24:25]
	;; [unrolled: 1-line block ×3, first 2 shown]
	v_add_f64 v[24:25], v[10:11], v[34:35]
	v_add_f64 v[44:45], v[2:3], v[10:11]
	v_fmac_f64_e32 v[2:3], -0.5, v[24:25]
	v_fma_f64 v[54:55], s[18:19], v[16:17], v[2:3]
	v_fmac_f64_e32 v[2:3], s[2:3], v[16:17]
	v_fmac_f64_e32 v[54:55], s[0:1], v[8:9]
	;; [unrolled: 1-line block ×3, first 2 shown]
	v_add_f64 v[8:9], v[4:5], v[12:13]
	s_waitcnt lgkmcnt(0)
	v_mul_f64 v[36:37], v[74:75], v[78:79]
	v_add_f64 v[8:9], v[8:9], v[20:21]
	v_fmac_f64_e32 v[36:37], v[72:73], v[76:77]
	v_mul_f64 v[38:39], v[74:75], v[76:77]
	v_add_f64 v[8:9], v[8:9], v[28:29]
	v_fma_f64 v[38:39], v[72:73], v[78:79], -v[38:39]
	v_add_f64 v[44:45], v[44:45], v[18:19]
	v_add_f64 v[10:11], v[18:19], -v[10:11]
	v_add_f64 v[18:19], v[26:27], -v[34:35]
	v_add_f64 v[32:33], v[8:9], v[36:37]
	v_add_f64 v[8:9], v[20:21], v[28:29]
	;; [unrolled: 1-line block ×4, first 2 shown]
	v_fma_f64 v[26:27], -0.5, v[8:9], v[4:5]
	v_add_f64 v[8:9], v[14:15], -v[38:39]
	v_fmac_f64_e32 v[54:55], s[6:7], v[10:11]
	v_fmac_f64_e32 v[2:3], s[6:7], v[10:11]
	v_fma_f64 v[18:19], s[18:19], v[8:9], v[26:27]
	v_add_f64 v[10:11], v[22:23], -v[30:31]
	v_add_f64 v[16:17], v[12:13], -v[20:21]
	;; [unrolled: 1-line block ×3, first 2 shown]
	v_fmac_f64_e32 v[26:27], s[2:3], v[8:9]
	v_fmac_f64_e32 v[18:19], s[16:17], v[10:11]
	v_add_f64 v[16:17], v[16:17], v[24:25]
	v_fmac_f64_e32 v[26:27], s[0:1], v[10:11]
	v_fmac_f64_e32 v[18:19], s[6:7], v[16:17]
	;; [unrolled: 1-line block ×3, first 2 shown]
	v_add_f64 v[16:17], v[12:13], v[36:37]
	v_fmac_f64_e32 v[4:5], -0.5, v[16:17]
	v_add_f64 v[44:45], v[44:45], v[34:35]
	v_fma_f64 v[34:35], s[2:3], v[10:11], v[4:5]
	v_fmac_f64_e32 v[4:5], s[18:19], v[10:11]
	v_fmac_f64_e32 v[34:35], s[16:17], v[8:9]
	;; [unrolled: 1-line block ×3, first 2 shown]
	v_add_f64 v[8:9], v[6:7], v[14:15]
	v_add_f64 v[8:9], v[8:9], v[22:23]
	;; [unrolled: 1-line block ×3, first 2 shown]
	v_add_f64 v[16:17], v[20:21], -v[12:13]
	v_add_f64 v[24:25], v[28:29], -v[36:37]
	v_add_f64 v[56:57], v[8:9], v[38:39]
	v_add_f64 v[8:9], v[22:23], v[30:31]
	;; [unrolled: 1-line block ×3, first 2 shown]
	v_fma_f64 v[58:59], -0.5, v[8:9], v[6:7]
	v_add_f64 v[8:9], v[12:13], -v[36:37]
	v_fmac_f64_e32 v[34:35], s[6:7], v[16:17]
	v_fmac_f64_e32 v[4:5], s[6:7], v[16:17]
	v_fma_f64 v[36:37], s[2:3], v[8:9], v[58:59]
	v_add_f64 v[10:11], v[20:21], -v[28:29]
	v_add_f64 v[12:13], v[14:15], -v[22:23]
	;; [unrolled: 1-line block ×3, first 2 shown]
	v_fmac_f64_e32 v[58:59], s[18:19], v[8:9]
	v_fmac_f64_e32 v[36:37], s[0:1], v[10:11]
	v_add_f64 v[12:13], v[12:13], v[16:17]
	v_fmac_f64_e32 v[58:59], s[16:17], v[10:11]
	v_fmac_f64_e32 v[36:37], s[6:7], v[12:13]
	;; [unrolled: 1-line block ×3, first 2 shown]
	v_add_f64 v[12:13], v[14:15], v[38:39]
	v_fmac_f64_e32 v[6:7], -0.5, v[12:13]
	v_fma_f64 v[28:29], s[18:19], v[10:11], v[6:7]
	v_add_f64 v[12:13], v[22:23], -v[14:15]
	v_add_f64 v[14:15], v[30:31], -v[38:39]
	v_fmac_f64_e32 v[6:7], s[2:3], v[10:11]
	v_fmac_f64_e32 v[28:29], s[0:1], v[8:9]
	v_add_f64 v[12:13], v[12:13], v[14:15]
	v_fmac_f64_e32 v[6:7], s[16:17], v[8:9]
	v_fmac_f64_e32 v[28:29], s[6:7], v[12:13]
	;; [unrolled: 1-line block ×3, first 2 shown]
	s_mov_b32 s20, 0x9b97f4a8
	v_mul_f64 v[30:31], v[36:37], s[16:17]
	s_mov_b32 s21, 0x3fe9e377
	v_mul_f64 v[38:39], v[28:29], s[18:19]
	v_mul_f64 v[60:61], v[6:7], s[18:19]
	s_mov_b32 s19, 0xbfd3c6ef
	s_mov_b32 s18, s6
	v_mul_f64 v[62:63], v[58:59], s[16:17]
	s_mov_b32 s17, 0xbfe9e377
	s_mov_b32 s16, s20
	v_mul_f64 v[64:65], v[36:37], s[20:21]
	v_mul_f64 v[66:67], v[28:29], s[6:7]
	;; [unrolled: 1-line block ×4, first 2 shown]
	v_add_f64 v[8:9], v[40:41], v[32:33]
	v_fmac_f64_e32 v[30:31], s[20:21], v[18:19]
	v_fmac_f64_e32 v[38:39], s[6:7], v[34:35]
	;; [unrolled: 1-line block ×4, first 2 shown]
	v_add_f64 v[10:11], v[44:45], v[56:57]
	v_fmac_f64_e32 v[64:65], s[0:1], v[18:19]
	v_fmac_f64_e32 v[66:67], s[2:3], v[34:35]
	;; [unrolled: 1-line block ×4, first 2 shown]
	v_add_f64 v[12:13], v[46:47], v[30:31]
	v_add_f64 v[16:17], v[50:51], v[38:39]
	;; [unrolled: 1-line block ×8, first 2 shown]
	v_add_f64 v[4:5], v[40:41], -v[32:33]
	v_add_f64 v[28:29], v[46:47], -v[30:31]
	;; [unrolled: 1-line block ×10, first 2 shown]
	ds_write_b128 v144, v[8:11]
	ds_write_b128 v144, v[12:15] offset:2288
	ds_write_b128 v144, v[16:19] offset:4576
	;; [unrolled: 1-line block ×9, first 2 shown]
	s_waitcnt lgkmcnt(0)
	s_barrier
	s_and_b64 exec, exec, s[4:5]
	s_cbranch_execz .LBB0_23
; %bb.22:
	global_load_dwordx4 v[0:3], v144, s[14:15]
	global_load_dwordx4 v[4:7], v144, s[14:15] offset:1760
	global_load_dwordx4 v[8:11], v144, s[14:15] offset:3520
	v_mov_b32_e32 v145, 0
	s_movk_i32 s0, 0x1000
	v_lshl_add_u64 v[40:41], s[14:15], 0, v[144:145]
	v_add_co_u32_e32 v16, vcc, s0, v40
	v_mad_u64_u32 v[46:47], s[2:3], s8, v147, 0
	s_nop 0
	v_addc_co_u32_e32 v17, vcc, 0, v41, vcc
	global_load_dwordx4 v[12:15], v[16:17], off offset:1184
	s_movk_i32 s2, 0x2000
	global_load_dwordx4 v[16:19], v[16:17], off offset:2944
	v_add_co_u32_e32 v52, vcc, s2, v40
	ds_read_b128 v[28:31], v144
	ds_read_b128 v[24:27], v144 offset:1760
	v_addc_co_u32_e32 v53, vcc, 0, v41, vcc
	global_load_dwordx4 v[20:23], v[52:53], off offset:608
	v_mad_u64_u32 v[44:45], s[0:1], s10, v146, 0
	v_mov_b32_e32 v54, v45
	ds_read_b128 v[36:39], v144 offset:3520
	ds_read_b128 v[32:35], v144 offset:5280
	s_movk_i32 s3, 0x3000
	v_mad_u64_u32 v[60:61], s[4:5], s11, v146, v[54:55]
	global_load_dwordx4 v[52:55], v[52:53], off offset:2368
	v_add_co_u32_e32 v64, vcc, s3, v40
	v_mov_b32_e32 v56, v47
	s_nop 0
	v_addc_co_u32_e32 v65, vcc, 0, v41, vcc
	v_mad_u64_u32 v[62:63], s[4:5], s9, v147, v[56:57]
	global_load_dwordx4 v[56:59], v[64:65], off offset:32
	v_mov_b32_e32 v45, v60
	v_mov_b32_e32 v47, v62
	global_load_dwordx4 v[60:63], v[64:65], off offset:1792
	v_mov_b32_e32 v42, s12
	v_mov_b32_e32 v43, s13
	v_lshl_add_u64 v[42:43], v[44:45], 4, v[42:43]
	v_mov_b32_e32 v74, 0x6e0
	v_lshl_add_u64 v[42:43], v[46:47], 4, v[42:43]
	s_mov_b32 s0, 0xd118b474
	s_mul_i32 s2, s9, 0x6e0
	v_mad_u64_u32 v[44:45], s[4:5], s8, v74, v[42:43]
	s_mov_b32 s1, 0x3f46ea28
	s_movk_i32 s6, 0x4000
	v_add_u32_e32 v45, s2, v45
	v_add_co_u32_e32 v66, vcc, s6, v40
	v_mad_u64_u32 v[46:47], s[4:5], s8, v74, v[44:45]
	ds_read_b128 v[48:51], v144 offset:21120
	v_addc_co_u32_e32 v67, vcc, 0, v41, vcc
	v_add_u32_e32 v47, s2, v47
	s_movk_i32 s3, 0x5000
	s_waitcnt vmcnt(8) lgkmcnt(4)
	v_mul_f64 v[68:69], v[30:31], v[2:3]
	v_mul_f64 v[2:3], v[28:29], v[2:3]
	v_fmac_f64_e32 v[68:69], v[28:29], v[0:1]
	v_fma_f64 v[28:29], v[0:1], v[30:31], -v[2:3]
	global_load_dwordx4 v[0:3], v[64:65], off offset:3552
	s_waitcnt vmcnt(8) lgkmcnt(3)
	v_mul_f64 v[70:71], v[26:27], v[6:7]
	v_mul_f64 v[6:7], v[24:25], v[6:7]
	s_waitcnt vmcnt(7) lgkmcnt(2)
	v_mul_f64 v[72:73], v[38:39], v[10:11]
	v_mul_f64 v[10:11], v[36:37], v[10:11]
	v_fmac_f64_e32 v[70:71], v[24:25], v[4:5]
	v_fma_f64 v[24:25], v[4:5], v[26:27], -v[6:7]
	v_fmac_f64_e32 v[72:73], v[36:37], v[8:9]
	v_fma_f64 v[26:27], v[8:9], v[38:39], -v[10:11]
	v_mul_f64 v[4:5], v[68:69], s[0:1]
	v_mul_f64 v[6:7], v[28:29], s[0:1]
	;; [unrolled: 1-line block ×6, first 2 shown]
	global_store_dwordx4 v[42:43], v[4:7], off
	global_store_dwordx4 v[44:45], v[8:11], off
	;; [unrolled: 1-line block ×3, first 2 shown]
	global_load_dwordx4 v[4:7], v[66:67], off offset:1216
	s_waitcnt vmcnt(10) lgkmcnt(1)
	v_mul_f64 v[8:9], v[34:35], v[14:15]
	global_load_dwordx4 v[24:27], v[66:67], off offset:2976
	v_mul_f64 v[10:11], v[32:33], v[14:15]
	v_fmac_f64_e32 v[8:9], v[32:33], v[12:13]
	v_fma_f64 v[10:11], v[12:13], v[34:35], -v[10:11]
	ds_read_b128 v[12:15], v144 offset:7040
	v_mad_u64_u32 v[32:33], s[4:5], s8, v74, v[46:47]
	v_mul_f64 v[8:9], v[8:9], s[0:1]
	v_mul_f64 v[10:11], v[10:11], s[0:1]
	v_add_u32_e32 v33, s2, v33
	global_store_dwordx4 v[32:33], v[8:11], off
	ds_read_b128 v[8:11], v144 offset:8800
	s_waitcnt vmcnt(11) lgkmcnt(1)
	v_mul_f64 v[28:29], v[14:15], v[18:19]
	v_fmac_f64_e32 v[28:29], v[12:13], v[16:17]
	v_mul_f64 v[12:13], v[12:13], v[18:19]
	v_fma_f64 v[12:13], v[16:17], v[14:15], -v[12:13]
	v_mul_f64 v[30:31], v[12:13], s[0:1]
	s_waitcnt vmcnt(10) lgkmcnt(0)
	v_mul_f64 v[12:13], v[10:11], v[22:23]
	v_fmac_f64_e32 v[12:13], v[8:9], v[20:21]
	v_mul_f64 v[8:9], v[8:9], v[22:23]
	v_mad_u64_u32 v[16:17], s[4:5], s8, v74, v[32:33]
	v_fma_f64 v[8:9], v[20:21], v[10:11], -v[8:9]
	v_add_u32_e32 v17, s2, v17
	v_mul_f64 v[14:15], v[8:9], s[0:1]
	ds_read_b128 v[8:11], v144 offset:10560
	v_mad_u64_u32 v[20:21], s[4:5], s8, v74, v[16:17]
	v_mul_f64 v[28:29], v[28:29], s[0:1]
	v_mul_f64 v[12:13], v[12:13], s[0:1]
	v_add_u32_e32 v21, s2, v21
	global_store_dwordx4 v[16:17], v[28:31], off
	global_store_dwordx4 v[20:21], v[12:15], off
	ds_read_b128 v[12:15], v144 offset:12320
	s_waitcnt vmcnt(11) lgkmcnt(1)
	v_mul_f64 v[16:17], v[10:11], v[54:55]
	v_fmac_f64_e32 v[16:17], v[8:9], v[52:53]
	v_mul_f64 v[8:9], v[8:9], v[54:55]
	v_fma_f64 v[8:9], v[52:53], v[10:11], -v[8:9]
	v_mul_f64 v[18:19], v[8:9], s[0:1]
	v_mad_u64_u32 v[20:21], s[4:5], s8, v74, v[20:21]
	s_waitcnt vmcnt(10) lgkmcnt(0)
	v_mul_f64 v[8:9], v[14:15], v[58:59]
	v_mul_f64 v[10:11], v[12:13], v[58:59]
	;; [unrolled: 1-line block ×3, first 2 shown]
	v_add_u32_e32 v21, s2, v21
	v_fmac_f64_e32 v[8:9], v[12:13], v[56:57]
	v_fma_f64 v[10:11], v[56:57], v[14:15], -v[10:11]
	ds_read_b128 v[12:15], v144 offset:14080
	global_store_dwordx4 v[20:21], v[16:19], off
	v_mad_u64_u32 v[20:21], s[4:5], s8, v74, v[20:21]
	v_mul_f64 v[8:9], v[8:9], s[0:1]
	v_mul_f64 v[10:11], v[10:11], s[0:1]
	v_add_u32_e32 v21, s2, v21
	global_store_dwordx4 v[20:21], v[8:11], off
	ds_read_b128 v[8:11], v144 offset:15840
	s_waitcnt vmcnt(11) lgkmcnt(1)
	v_mul_f64 v[16:17], v[14:15], v[62:63]
	v_fmac_f64_e32 v[16:17], v[12:13], v[60:61]
	v_mul_f64 v[12:13], v[12:13], v[62:63]
	v_fma_f64 v[12:13], v[60:61], v[14:15], -v[12:13]
	v_mul_f64 v[18:19], v[12:13], s[0:1]
	v_mad_u64_u32 v[20:21], s[4:5], s8, v74, v[20:21]
	s_waitcnt vmcnt(10) lgkmcnt(0)
	v_mul_f64 v[12:13], v[10:11], v[2:3]
	v_mul_f64 v[2:3], v[8:9], v[2:3]
	v_fmac_f64_e32 v[12:13], v[8:9], v[0:1]
	v_fma_f64 v[0:1], v[0:1], v[10:11], -v[2:3]
	v_mul_f64 v[14:15], v[0:1], s[0:1]
	ds_read_b128 v[0:3], v144 offset:17600
	ds_read_b128 v[8:11], v144 offset:19360
	v_mul_f64 v[16:17], v[16:17], s[0:1]
	v_add_u32_e32 v21, s2, v21
	global_store_dwordx4 v[20:21], v[16:19], off
	v_mul_f64 v[12:13], v[12:13], s[0:1]
	s_nop 0
	v_mad_u64_u32 v[16:17], s[4:5], s8, v74, v[20:21]
	v_add_u32_e32 v17, s2, v17
	global_store_dwordx4 v[16:17], v[12:15], off
	s_waitcnt vmcnt(8) lgkmcnt(1)
	s_nop 0
	v_mul_f64 v[12:13], v[2:3], v[6:7]
	v_fmac_f64_e32 v[12:13], v[0:1], v[4:5]
	v_mul_f64 v[0:1], v[0:1], v[6:7]
	v_fma_f64 v[0:1], v[4:5], v[2:3], -v[0:1]
	v_mad_u64_u32 v[4:5], s[4:5], s8, v74, v[16:17]
	v_mul_f64 v[14:15], v[0:1], s[0:1]
	v_add_u32_e32 v5, s2, v5
	s_waitcnt vmcnt(7) lgkmcnt(0)
	v_mul_f64 v[0:1], v[10:11], v[26:27]
	v_mul_f64 v[2:3], v[8:9], v[26:27]
	v_fmac_f64_e32 v[0:1], v[8:9], v[24:25]
	v_fma_f64 v[2:3], v[24:25], v[10:11], -v[2:3]
	v_mad_u64_u32 v[8:9], s[4:5], s8, v74, v[4:5]
	v_mul_f64 v[12:13], v[12:13], s[0:1]
	v_mul_f64 v[0:1], v[0:1], s[0:1]
	;; [unrolled: 1-line block ×3, first 2 shown]
	v_add_u32_e32 v9, s2, v9
	global_store_dwordx4 v[4:5], v[12:15], off
	global_store_dwordx4 v[8:9], v[0:3], off
	s_nop 1
	v_add_co_u32_e32 v0, vcc, s3, v40
	s_nop 1
	v_addc_co_u32_e32 v1, vcc, 0, v41, vcc
	global_load_dwordx4 v[0:3], v[0:1], off offset:640
	s_waitcnt vmcnt(0)
	v_mul_f64 v[4:5], v[50:51], v[2:3]
	v_mul_f64 v[2:3], v[48:49], v[2:3]
	v_fmac_f64_e32 v[4:5], v[48:49], v[0:1]
	v_fma_f64 v[0:1], v[0:1], v[50:51], -v[2:3]
	v_mul_f64 v[4:5], v[4:5], s[0:1]
	v_mul_f64 v[6:7], v[0:1], s[0:1]
	v_mad_u64_u32 v[0:1], s[0:1], s8, v74, v[8:9]
	v_add_u32_e32 v1, s2, v1
	global_store_dwordx4 v[0:1], v[4:7], off
.LBB0_23:
	s_endpgm
	.section	.rodata,"a",@progbits
	.p2align	6, 0x0
	.amdhsa_kernel bluestein_single_back_len1430_dim1_dp_op_CI_CI
		.amdhsa_group_segment_fixed_size 22880
		.amdhsa_private_segment_fixed_size 0
		.amdhsa_kernarg_size 104
		.amdhsa_user_sgpr_count 2
		.amdhsa_user_sgpr_dispatch_ptr 0
		.amdhsa_user_sgpr_queue_ptr 0
		.amdhsa_user_sgpr_kernarg_segment_ptr 1
		.amdhsa_user_sgpr_dispatch_id 0
		.amdhsa_user_sgpr_kernarg_preload_length 0
		.amdhsa_user_sgpr_kernarg_preload_offset 0
		.amdhsa_user_sgpr_private_segment_size 0
		.amdhsa_uses_dynamic_stack 0
		.amdhsa_enable_private_segment 0
		.amdhsa_system_sgpr_workgroup_id_x 1
		.amdhsa_system_sgpr_workgroup_id_y 0
		.amdhsa_system_sgpr_workgroup_id_z 0
		.amdhsa_system_sgpr_workgroup_info 0
		.amdhsa_system_vgpr_workitem_id 0
		.amdhsa_next_free_vgpr 236
		.amdhsa_next_free_sgpr 50
		.amdhsa_accum_offset 236
		.amdhsa_reserve_vcc 1
		.amdhsa_float_round_mode_32 0
		.amdhsa_float_round_mode_16_64 0
		.amdhsa_float_denorm_mode_32 3
		.amdhsa_float_denorm_mode_16_64 3
		.amdhsa_dx10_clamp 1
		.amdhsa_ieee_mode 1
		.amdhsa_fp16_overflow 0
		.amdhsa_tg_split 0
		.amdhsa_exception_fp_ieee_invalid_op 0
		.amdhsa_exception_fp_denorm_src 0
		.amdhsa_exception_fp_ieee_div_zero 0
		.amdhsa_exception_fp_ieee_overflow 0
		.amdhsa_exception_fp_ieee_underflow 0
		.amdhsa_exception_fp_ieee_inexact 0
		.amdhsa_exception_int_div_zero 0
	.end_amdhsa_kernel
	.text
.Lfunc_end0:
	.size	bluestein_single_back_len1430_dim1_dp_op_CI_CI, .Lfunc_end0-bluestein_single_back_len1430_dim1_dp_op_CI_CI
                                        ; -- End function
	.section	.AMDGPU.csdata,"",@progbits
; Kernel info:
; codeLenInByte = 20320
; NumSgprs: 56
; NumVgprs: 236
; NumAgprs: 0
; TotalNumVgprs: 236
; ScratchSize: 0
; MemoryBound: 0
; FloatMode: 240
; IeeeMode: 1
; LDSByteSize: 22880 bytes/workgroup (compile time only)
; SGPRBlocks: 6
; VGPRBlocks: 29
; NumSGPRsForWavesPerEU: 56
; NumVGPRsForWavesPerEU: 236
; AccumOffset: 236
; Occupancy: 2
; WaveLimiterHint : 1
; COMPUTE_PGM_RSRC2:SCRATCH_EN: 0
; COMPUTE_PGM_RSRC2:USER_SGPR: 2
; COMPUTE_PGM_RSRC2:TRAP_HANDLER: 0
; COMPUTE_PGM_RSRC2:TGID_X_EN: 1
; COMPUTE_PGM_RSRC2:TGID_Y_EN: 0
; COMPUTE_PGM_RSRC2:TGID_Z_EN: 0
; COMPUTE_PGM_RSRC2:TIDIG_COMP_CNT: 0
; COMPUTE_PGM_RSRC3_GFX90A:ACCUM_OFFSET: 58
; COMPUTE_PGM_RSRC3_GFX90A:TG_SPLIT: 0
	.text
	.p2alignl 6, 3212836864
	.fill 256, 4, 3212836864
	.type	__hip_cuid_33901e45691e84ec,@object ; @__hip_cuid_33901e45691e84ec
	.section	.bss,"aw",@nobits
	.globl	__hip_cuid_33901e45691e84ec
__hip_cuid_33901e45691e84ec:
	.byte	0                               ; 0x0
	.size	__hip_cuid_33901e45691e84ec, 1

	.ident	"AMD clang version 19.0.0git (https://github.com/RadeonOpenCompute/llvm-project roc-6.4.0 25133 c7fe45cf4b819c5991fe208aaa96edf142730f1d)"
	.section	".note.GNU-stack","",@progbits
	.addrsig
	.addrsig_sym __hip_cuid_33901e45691e84ec
	.amdgpu_metadata
---
amdhsa.kernels:
  - .agpr_count:     0
    .args:
      - .actual_access:  read_only
        .address_space:  global
        .offset:         0
        .size:           8
        .value_kind:     global_buffer
      - .actual_access:  read_only
        .address_space:  global
        .offset:         8
        .size:           8
        .value_kind:     global_buffer
      - .actual_access:  read_only
        .address_space:  global
        .offset:         16
        .size:           8
        .value_kind:     global_buffer
      - .actual_access:  read_only
        .address_space:  global
        .offset:         24
        .size:           8
        .value_kind:     global_buffer
      - .actual_access:  read_only
        .address_space:  global
        .offset:         32
        .size:           8
        .value_kind:     global_buffer
      - .offset:         40
        .size:           8
        .value_kind:     by_value
      - .address_space:  global
        .offset:         48
        .size:           8
        .value_kind:     global_buffer
      - .address_space:  global
        .offset:         56
        .size:           8
        .value_kind:     global_buffer
      - .address_space:  global
        .offset:         64
        .size:           8
        .value_kind:     global_buffer
      - .address_space:  global
        .offset:         72
        .size:           8
        .value_kind:     global_buffer
      - .offset:         80
        .size:           4
        .value_kind:     by_value
      - .address_space:  global
        .offset:         88
        .size:           8
        .value_kind:     global_buffer
      - .address_space:  global
        .offset:         96
        .size:           8
        .value_kind:     global_buffer
    .group_segment_fixed_size: 22880
    .kernarg_segment_align: 8
    .kernarg_segment_size: 104
    .language:       OpenCL C
    .language_version:
      - 2
      - 0
    .max_flat_workgroup_size: 143
    .name:           bluestein_single_back_len1430_dim1_dp_op_CI_CI
    .private_segment_fixed_size: 0
    .sgpr_count:     56
    .sgpr_spill_count: 0
    .symbol:         bluestein_single_back_len1430_dim1_dp_op_CI_CI.kd
    .uniform_work_group_size: 1
    .uses_dynamic_stack: false
    .vgpr_count:     236
    .vgpr_spill_count: 0
    .wavefront_size: 64
amdhsa.target:   amdgcn-amd-amdhsa--gfx950
amdhsa.version:
  - 1
  - 2
...

	.end_amdgpu_metadata
